;; amdgpu-corpus repo=ROCm/rocFFT kind=compiled arch=gfx1030 opt=O3
	.text
	.amdgcn_target "amdgcn-amd-amdhsa--gfx1030"
	.amdhsa_code_object_version 6
	.protected	fft_rtc_fwd_len425_factors_17_5_5_wgs_51_tpt_17_halfLds_sp_ip_CI_unitstride_sbrr_dirReg ; -- Begin function fft_rtc_fwd_len425_factors_17_5_5_wgs_51_tpt_17_halfLds_sp_ip_CI_unitstride_sbrr_dirReg
	.globl	fft_rtc_fwd_len425_factors_17_5_5_wgs_51_tpt_17_halfLds_sp_ip_CI_unitstride_sbrr_dirReg
	.p2align	8
	.type	fft_rtc_fwd_len425_factors_17_5_5_wgs_51_tpt_17_halfLds_sp_ip_CI_unitstride_sbrr_dirReg,@function
fft_rtc_fwd_len425_factors_17_5_5_wgs_51_tpt_17_halfLds_sp_ip_CI_unitstride_sbrr_dirReg: ; @fft_rtc_fwd_len425_factors_17_5_5_wgs_51_tpt_17_halfLds_sp_ip_CI_unitstride_sbrr_dirReg
; %bb.0:
	s_load_dwordx4 s[8:11], s[4:5], 0x0
	v_mul_u32_u24_e32 v1, 0xf10, v0
	s_clause 0x1
	s_load_dwordx2 s[2:3], s[4:5], 0x50
	s_load_dwordx2 s[12:13], s[4:5], 0x18
	v_mov_b32_e32 v3, 0
	v_lshrrev_b32_e32 v1, 16, v1
	v_mad_u64_u32 v[16:17], null, s6, 3, v[1:2]
	v_mov_b32_e32 v17, v3
	v_mov_b32_e32 v1, 0
	;; [unrolled: 1-line block ×4, first 2 shown]
	s_waitcnt lgkmcnt(0)
	v_cmp_lt_u64_e64 s0, s[10:11], 2
	v_mov_b32_e32 v8, v17
	s_and_b32 vcc_lo, exec_lo, s0
	s_cbranch_vccnz .LBB0_8
; %bb.1:
	s_load_dwordx2 s[0:1], s[4:5], 0x10
	v_mov_b32_e32 v1, 0
	v_mov_b32_e32 v5, v16
	s_add_u32 s6, s12, 8
	v_mov_b32_e32 v2, 0
	v_mov_b32_e32 v6, v17
	s_addc_u32 s7, s13, 0
	s_mov_b64 s[16:17], 1
	s_waitcnt lgkmcnt(0)
	s_add_u32 s14, s0, 8
	s_addc_u32 s15, s1, 0
.LBB0_2:                                ; =>This Inner Loop Header: Depth=1
	s_load_dwordx2 s[18:19], s[14:15], 0x0
                                        ; implicit-def: $vgpr7_vgpr8
	s_mov_b32 s0, exec_lo
	s_waitcnt lgkmcnt(0)
	v_or_b32_e32 v4, s19, v6
	v_cmpx_ne_u64_e32 0, v[3:4]
	s_xor_b32 s1, exec_lo, s0
	s_cbranch_execz .LBB0_4
; %bb.3:                                ;   in Loop: Header=BB0_2 Depth=1
	v_cvt_f32_u32_e32 v4, s18
	v_cvt_f32_u32_e32 v7, s19
	s_sub_u32 s0, 0, s18
	s_subb_u32 s20, 0, s19
	v_fmac_f32_e32 v4, 0x4f800000, v7
	v_rcp_f32_e32 v4, v4
	v_mul_f32_e32 v4, 0x5f7ffffc, v4
	v_mul_f32_e32 v7, 0x2f800000, v4
	v_trunc_f32_e32 v7, v7
	v_fmac_f32_e32 v4, 0xcf800000, v7
	v_cvt_u32_f32_e32 v7, v7
	v_cvt_u32_f32_e32 v4, v4
	v_mul_lo_u32 v8, s0, v7
	v_mul_hi_u32 v9, s0, v4
	v_mul_lo_u32 v10, s20, v4
	v_add_nc_u32_e32 v8, v9, v8
	v_mul_lo_u32 v9, s0, v4
	v_add_nc_u32_e32 v8, v8, v10
	v_mul_hi_u32 v10, v4, v9
	v_mul_lo_u32 v11, v4, v8
	v_mul_hi_u32 v12, v4, v8
	v_mul_hi_u32 v13, v7, v9
	v_mul_lo_u32 v9, v7, v9
	v_mul_hi_u32 v14, v7, v8
	v_mul_lo_u32 v8, v7, v8
	v_add_co_u32 v10, vcc_lo, v10, v11
	v_add_co_ci_u32_e32 v11, vcc_lo, 0, v12, vcc_lo
	v_add_co_u32 v9, vcc_lo, v10, v9
	v_add_co_ci_u32_e32 v9, vcc_lo, v11, v13, vcc_lo
	v_add_co_ci_u32_e32 v10, vcc_lo, 0, v14, vcc_lo
	v_add_co_u32 v8, vcc_lo, v9, v8
	v_add_co_ci_u32_e32 v9, vcc_lo, 0, v10, vcc_lo
	v_add_co_u32 v4, vcc_lo, v4, v8
	v_add_co_ci_u32_e32 v7, vcc_lo, v7, v9, vcc_lo
	v_mul_hi_u32 v8, s0, v4
	v_mul_lo_u32 v10, s20, v4
	v_mul_lo_u32 v9, s0, v7
	v_add_nc_u32_e32 v8, v8, v9
	v_mul_lo_u32 v9, s0, v4
	v_add_nc_u32_e32 v8, v8, v10
	v_mul_hi_u32 v10, v4, v9
	v_mul_lo_u32 v11, v4, v8
	v_mul_hi_u32 v12, v4, v8
	v_mul_hi_u32 v13, v7, v9
	v_mul_lo_u32 v9, v7, v9
	v_mul_hi_u32 v14, v7, v8
	v_mul_lo_u32 v8, v7, v8
	v_add_co_u32 v10, vcc_lo, v10, v11
	v_add_co_ci_u32_e32 v11, vcc_lo, 0, v12, vcc_lo
	v_add_co_u32 v9, vcc_lo, v10, v9
	v_add_co_ci_u32_e32 v9, vcc_lo, v11, v13, vcc_lo
	v_add_co_ci_u32_e32 v10, vcc_lo, 0, v14, vcc_lo
	v_add_co_u32 v8, vcc_lo, v9, v8
	v_add_co_ci_u32_e32 v9, vcc_lo, 0, v10, vcc_lo
	v_add_co_u32 v4, vcc_lo, v4, v8
	v_add_co_ci_u32_e32 v11, vcc_lo, v7, v9, vcc_lo
	v_mul_hi_u32 v13, v5, v4
	v_mad_u64_u32 v[9:10], null, v6, v4, 0
	v_mad_u64_u32 v[7:8], null, v5, v11, 0
	v_mad_u64_u32 v[11:12], null, v6, v11, 0
	v_add_co_u32 v4, vcc_lo, v13, v7
	v_add_co_ci_u32_e32 v7, vcc_lo, 0, v8, vcc_lo
	v_add_co_u32 v4, vcc_lo, v4, v9
	v_add_co_ci_u32_e32 v4, vcc_lo, v7, v10, vcc_lo
	v_add_co_ci_u32_e32 v7, vcc_lo, 0, v12, vcc_lo
	v_add_co_u32 v4, vcc_lo, v4, v11
	v_add_co_ci_u32_e32 v9, vcc_lo, 0, v7, vcc_lo
	v_mul_lo_u32 v10, s19, v4
	v_mad_u64_u32 v[7:8], null, s18, v4, 0
	v_mul_lo_u32 v11, s18, v9
	v_sub_co_u32 v7, vcc_lo, v5, v7
	v_add3_u32 v8, v8, v11, v10
	v_sub_nc_u32_e32 v10, v6, v8
	v_subrev_co_ci_u32_e64 v10, s0, s19, v10, vcc_lo
	v_add_co_u32 v11, s0, v4, 2
	v_add_co_ci_u32_e64 v12, s0, 0, v9, s0
	v_sub_co_u32 v13, s0, v7, s18
	v_sub_co_ci_u32_e32 v8, vcc_lo, v6, v8, vcc_lo
	v_subrev_co_ci_u32_e64 v10, s0, 0, v10, s0
	v_cmp_le_u32_e32 vcc_lo, s18, v13
	v_cmp_eq_u32_e64 s0, s19, v8
	v_cndmask_b32_e64 v13, 0, -1, vcc_lo
	v_cmp_le_u32_e32 vcc_lo, s19, v10
	v_cndmask_b32_e64 v14, 0, -1, vcc_lo
	v_cmp_le_u32_e32 vcc_lo, s18, v7
	;; [unrolled: 2-line block ×3, first 2 shown]
	v_cndmask_b32_e64 v15, 0, -1, vcc_lo
	v_cmp_eq_u32_e32 vcc_lo, s19, v10
	v_cndmask_b32_e64 v7, v15, v7, s0
	v_cndmask_b32_e32 v10, v14, v13, vcc_lo
	v_add_co_u32 v13, vcc_lo, v4, 1
	v_add_co_ci_u32_e32 v14, vcc_lo, 0, v9, vcc_lo
	v_cmp_ne_u32_e32 vcc_lo, 0, v10
	v_cndmask_b32_e32 v8, v14, v12, vcc_lo
	v_cndmask_b32_e32 v10, v13, v11, vcc_lo
	v_cmp_ne_u32_e32 vcc_lo, 0, v7
	v_cndmask_b32_e32 v8, v9, v8, vcc_lo
	v_cndmask_b32_e32 v7, v4, v10, vcc_lo
.LBB0_4:                                ;   in Loop: Header=BB0_2 Depth=1
	s_andn2_saveexec_b32 s0, s1
	s_cbranch_execz .LBB0_6
; %bb.5:                                ;   in Loop: Header=BB0_2 Depth=1
	v_cvt_f32_u32_e32 v4, s18
	s_sub_i32 s1, 0, s18
	v_rcp_iflag_f32_e32 v4, v4
	v_mul_f32_e32 v4, 0x4f7ffffe, v4
	v_cvt_u32_f32_e32 v4, v4
	v_mul_lo_u32 v7, s1, v4
	v_mul_hi_u32 v7, v4, v7
	v_add_nc_u32_e32 v4, v4, v7
	v_mul_hi_u32 v4, v5, v4
	v_mul_lo_u32 v7, v4, s18
	v_add_nc_u32_e32 v8, 1, v4
	v_sub_nc_u32_e32 v7, v5, v7
	v_subrev_nc_u32_e32 v9, s18, v7
	v_cmp_le_u32_e32 vcc_lo, s18, v7
	v_cndmask_b32_e32 v7, v7, v9, vcc_lo
	v_cndmask_b32_e32 v4, v4, v8, vcc_lo
	v_cmp_le_u32_e32 vcc_lo, s18, v7
	v_add_nc_u32_e32 v8, 1, v4
	v_cndmask_b32_e32 v7, v4, v8, vcc_lo
	v_mov_b32_e32 v8, v3
.LBB0_6:                                ;   in Loop: Header=BB0_2 Depth=1
	s_or_b32 exec_lo, exec_lo, s0
	s_load_dwordx2 s[0:1], s[6:7], 0x0
	v_mul_lo_u32 v4, v8, s18
	v_mul_lo_u32 v11, v7, s19
	v_mad_u64_u32 v[9:10], null, v7, s18, 0
	s_add_u32 s16, s16, 1
	s_addc_u32 s17, s17, 0
	s_add_u32 s6, s6, 8
	s_addc_u32 s7, s7, 0
	;; [unrolled: 2-line block ×3, first 2 shown]
	v_add3_u32 v4, v10, v11, v4
	v_sub_co_u32 v5, vcc_lo, v5, v9
	v_sub_co_ci_u32_e32 v4, vcc_lo, v6, v4, vcc_lo
	s_waitcnt lgkmcnt(0)
	v_mul_lo_u32 v6, s1, v5
	v_mul_lo_u32 v4, s0, v4
	v_mad_u64_u32 v[1:2], null, s0, v5, v[1:2]
	v_cmp_ge_u64_e64 s0, s[16:17], s[10:11]
	s_and_b32 vcc_lo, exec_lo, s0
	v_add3_u32 v2, v6, v2, v4
	s_cbranch_vccnz .LBB0_8
; %bb.7:                                ;   in Loop: Header=BB0_2 Depth=1
	v_mov_b32_e32 v5, v7
	v_mov_b32_e32 v6, v8
	s_branch .LBB0_2
.LBB0_8:
	s_lshl_b64 s[0:1], s[10:11], 3
	v_mul_hi_u32 v3, 0xf0f0f10, v0
	s_add_u32 s0, s12, s0
	s_addc_u32 s1, s13, s1
	v_mov_b32_e32 v26, 0
	s_load_dwordx2 s[0:1], s[0:1], 0x0
	s_load_dwordx2 s[4:5], s[4:5], 0x20
                                        ; implicit-def: $vgpr62
                                        ; implicit-def: $vgpr72
                                        ; implicit-def: $vgpr70
                                        ; implicit-def: $vgpr60
                                        ; implicit-def: $vgpr56
                                        ; implicit-def: $vgpr52
                                        ; implicit-def: $vgpr48
                                        ; implicit-def: $vgpr44
                                        ; implicit-def: $vgpr40
                                        ; implicit-def: $vgpr38
                                        ; implicit-def: $vgpr36
                                        ; implicit-def: $vgpr28
                                        ; implicit-def: $vgpr22
                                        ; implicit-def: $vgpr18
                                        ; implicit-def: $vgpr13
                                        ; implicit-def: $vgpr9
                                        ; implicit-def: $vgpr34
                                        ; implicit-def: $vgpr32
                                        ; implicit-def: $vgpr30
                                        ; implicit-def: $vgpr24
                                        ; implicit-def: $vgpr20
                                        ; implicit-def: $vgpr15
                                        ; implicit-def: $vgpr11
                                        ; implicit-def: $vgpr66
                                        ; implicit-def: $vgpr68
                                        ; implicit-def: $vgpr64
                                        ; implicit-def: $vgpr58
                                        ; implicit-def: $vgpr54
                                        ; implicit-def: $vgpr50
                                        ; implicit-def: $vgpr46
                                        ; implicit-def: $vgpr42
	v_mul_u32_u24_e32 v3, 17, v3
	v_sub_nc_u32_e32 v0, v0, v3
	s_waitcnt lgkmcnt(0)
	v_mul_lo_u32 v4, s0, v8
	v_mul_lo_u32 v5, s1, v7
	v_mad_u64_u32 v[1:2], null, s0, v7, v[1:2]
	v_cmp_gt_u64_e32 vcc_lo, s[4:5], v[7:8]
                                        ; implicit-def: $vgpr7
	v_add3_u32 v2, v5, v2, v4
                                        ; implicit-def: $vgpr5
	v_lshlrev_b64 v[2:3], 3, v[1:2]
	v_mov_b32_e32 v1, 0
	s_and_saveexec_b32 s1, vcc_lo
	s_cbranch_execz .LBB0_12
; %bb.9:
	v_mov_b32_e32 v1, 0
	v_add_co_u32 v5, s0, s2, v2
	v_add_co_ci_u32_e64 v7, s0, s3, v3, s0
	v_lshlrev_b64 v[8:9], 3, v[0:1]
	v_mov_b32_e32 v26, 0
	s_mov_b32 s4, exec_lo
                                        ; implicit-def: $vgpr6
                                        ; implicit-def: $vgpr10
                                        ; implicit-def: $vgpr14
                                        ; implicit-def: $vgpr19
                                        ; implicit-def: $vgpr23
                                        ; implicit-def: $vgpr29
                                        ; implicit-def: $vgpr31
                                        ; implicit-def: $vgpr33
                                        ; implicit-def: $vgpr4
                                        ; implicit-def: $vgpr12
                                        ; implicit-def: $vgpr17
                                        ; implicit-def: $vgpr21
                                        ; implicit-def: $vgpr27
                                        ; implicit-def: $vgpr35
                                        ; implicit-def: $vgpr37
	v_add_co_u32 v73, s0, v5, v8
	v_add_co_ci_u32_e64 v74, s0, v7, v9, s0
                                        ; implicit-def: $vgpr8
	s_clause 0x3
	global_load_dwordx2 v[61:62], v[73:74], off
	global_load_dwordx2 v[71:72], v[73:74], off offset:200
	global_load_dwordx2 v[69:70], v[73:74], off offset:400
	;; [unrolled: 1-line block ×3, first 2 shown]
	v_add_co_u32 v75, s0, 0x800, v73
	v_add_co_ci_u32_e64 v76, s0, 0, v74, s0
	s_clause 0xc
	global_load_dwordx2 v[55:56], v[73:74], off offset:800
	global_load_dwordx2 v[51:52], v[73:74], off offset:1000
	;; [unrolled: 1-line block ×13, first 2 shown]
	v_cmpx_gt_u32_e32 8, v0
	s_cbranch_execz .LBB0_11
; %bb.10:
	v_or_b32_e32 v8, 0x188, v0
	v_mov_b32_e32 v9, v1
	s_clause 0x3
	global_load_dwordx2 v[25:26], v[73:74], off offset:136
	global_load_dwordx2 v[37:38], v[73:74], off offset:336
	;; [unrolled: 1-line block ×4, first 2 shown]
	v_lshlrev_b64 v[10:11], 3, v[8:9]
	s_clause 0x3
	global_load_dwordx2 v[21:22], v[73:74], off offset:936
	global_load_dwordx2 v[17:18], v[73:74], off offset:1136
	;; [unrolled: 1-line block ×4, first 2 shown]
	v_add_co_u32 v19, s0, v5, v10
	v_add_co_ci_u32_e64 v20, s0, v7, v11, s0
	s_clause 0x8
	global_load_dwordx2 v[4:5], v[73:74], off offset:1736
	global_load_dwordx2 v[6:7], v[73:74], off offset:1936
	;; [unrolled: 1-line block ×4, first 2 shown]
	global_load_dwordx2 v[31:32], v[19:20], off
	global_load_dwordx2 v[19:20], v[75:76], off offset:488
	global_load_dwordx2 v[23:24], v[75:76], off offset:688
	;; [unrolled: 1-line block ×4, first 2 shown]
	s_waitcnt vmcnt(16)
	v_mov_b32_e32 v1, v25
.LBB0_11:
	s_or_b32 exec_lo, exec_lo, s4
.LBB0_12:
	s_or_b32 exec_lo, exec_lo, s1
	s_waitcnt vmcnt(15)
	v_add_f32_e32 v25, v61, v71
	s_waitcnt vmcnt(0)
	v_add_f32_e32 v74, v65, v71
	v_sub_f32_e32 v75, v72, v66
	v_add_f32_e32 v76, v67, v69
	v_mul_hi_u32 v73, 0xaaaaaaab, v16
	v_add_f32_e32 v25, v25, v69
	v_mul_f32_e32 v78, 0x3f6eb680, v74
	v_mul_f32_e32 v80, 0x3ee437d1, v74
	v_sub_f32_e32 v77, v70, v68
	v_mul_f32_e32 v79, 0x3f3d2fb0, v74
	v_add_f32_e32 v25, v25, v59
	v_mul_f32_e32 v81, 0x3dbcf732, v74
	v_mul_f32_e32 v82, 0xbe8c1d8e, v74
	;; [unrolled: 1-line block ×4, first 2 shown]
	v_add_f32_e32 v25, v25, v55
	v_mul_f32_e32 v74, 0xbf7ba420, v74
	v_mul_f32_e32 v85, 0x3f3d2fb0, v76
	;; [unrolled: 1-line block ×3, first 2 shown]
	v_fmamk_f32 v89, v75, 0x3eb8f4ab, v78
	v_add_f32_e32 v25, v25, v51
	v_fmac_f32_e32 v78, 0xbeb8f4ab, v75
	v_fmamk_f32 v91, v75, 0x3f65296c, v80
	v_fmac_f32_e32 v80, 0xbf65296c, v75
	v_mul_f32_e32 v86, 0x3dbcf732, v76
	v_add_f32_e32 v25, v25, v47
	v_mul_f32_e32 v88, 0xbf7ba420, v76
	v_lshrrev_b32_e32 v73, 1, v73
	v_fmamk_f32 v90, v75, 0x3f2c7751, v79
	v_fmac_f32_e32 v79, 0xbf2c7751, v75
	v_add_f32_e32 v25, v25, v43
	v_fmamk_f32 v92, v75, 0x3f7ee86f, v81
	v_fmac_f32_e32 v81, 0xbf7ee86f, v75
	v_fmamk_f32 v93, v75, 0x3f763a35, v82
	v_fmac_f32_e32 v82, 0xbf763a35, v75
	v_add_f32_e32 v25, v25, v39
	v_fmamk_f32 v94, v75, 0x3f4c4adb, v83
	v_fmac_f32_e32 v83, 0xbf4c4adb, v75
	;; [unrolled: 5-line block ×3, first 2 shown]
	v_fmamk_f32 v75, v77, 0x3f2c7751, v85
	v_fmac_f32_e32 v85, 0xbf2c7751, v77
	v_add_f32_e32 v25, v45, v25
	v_fmamk_f32 v98, v77, 0x3f4c4adb, v87
	v_add_f32_e32 v89, v89, v61
	v_add_f32_e32 v78, v78, v61
	;; [unrolled: 1-line block ×4, first 2 shown]
	v_fmac_f32_e32 v87, 0xbf4c4adb, v77
	v_fmamk_f32 v97, v77, 0x3f7ee86f, v86
	v_fmac_f32_e32 v86, 0xbf7ee86f, v77
	v_lshl_add_u32 v73, v73, 1, v73
	v_add_f32_e32 v25, v53, v25
	v_add_f32_e32 v90, v90, v61
	;; [unrolled: 1-line block ×18, first 2 shown]
	v_fmamk_f32 v85, v77, 0x3e3c28d5, v88
	v_fmac_f32_e32 v88, 0xbe3c28d5, v77
	v_add_f32_e32 v80, v80, v87
	v_mul_f32_e32 v87, 0xbe8c1d8e, v76
	v_sub_nc_u32_e32 v16, v16, v73
	v_add_f32_e32 v73, v67, v25
	v_add_f32_e32 v78, v79, v86
	v_mul_f32_e32 v86, 0xbf59a7d5, v76
	v_add_f32_e32 v81, v81, v88
	v_fmamk_f32 v88, v77, 0xbf763a35, v87
	v_fmac_f32_e32 v87, 0x3f763a35, v77
	v_mul_u32_u24_e32 v25, 0x1a9, v16
	v_add_f32_e32 v16, v65, v73
	v_add_f32_e32 v73, v90, v97
	v_fmamk_f32 v89, v77, 0xbf06c442, v86
	v_fmac_f32_e32 v86, 0x3f06c442, v77
	v_mul_f32_e32 v90, 0x3ee437d1, v76
	v_mul_f32_e32 v76, 0x3f6eb680, v76
	v_add_f32_e32 v83, v83, v87
	v_add_f32_e32 v87, v63, v59
	;; [unrolled: 1-line block ×7, first 2 shown]
	v_fmamk_f32 v88, v77, 0xbf65296c, v90
	v_fmac_f32_e32 v90, 0x3f65296c, v77
	v_fmamk_f32 v91, v77, 0xbeb8f4ab, v76
	v_sub_f32_e32 v92, v60, v64
	v_mul_f32_e32 v93, 0x3ee437d1, v87
	v_fmac_f32_e32 v76, 0x3eb8f4ab, v77
	v_add_f32_e32 v84, v84, v90
	v_add_f32_e32 v77, v96, v91
	v_mul_f32_e32 v90, 0xbf1a4643, v87
	v_fmamk_f32 v91, v92, 0x3f65296c, v93
	v_fmac_f32_e32 v93, 0xbf65296c, v92
	v_add_f32_e32 v61, v61, v76
	v_mul_f32_e32 v76, 0xbf7ba420, v87
	v_fmamk_f32 v94, v92, 0x3f4c4adb, v90
	v_add_f32_e32 v74, v74, v91
	v_add_f32_e32 v75, v75, v93
	v_fmac_f32_e32 v90, 0xbf4c4adb, v92
	v_fmamk_f32 v91, v92, 0xbe3c28d5, v76
	v_mul_f32_e32 v93, 0xbe8c1d8e, v87
	v_fmac_f32_e32 v76, 0x3e3c28d5, v92
	v_add_f32_e32 v73, v73, v94
	v_add_f32_e32 v78, v78, v90
	;; [unrolled: 1-line block ×3, first 2 shown]
	v_mul_f32_e32 v90, 0x3f3d2fb0, v87
	v_fmamk_f32 v91, v92, 0xbf763a35, v93
	v_add_f32_e32 v76, v80, v76
	v_mul_f32_e32 v80, 0x3f6eb680, v87
	v_fmac_f32_e32 v93, 0x3f763a35, v92
	v_fmamk_f32 v94, v92, 0xbf2c7751, v90
	v_add_f32_e32 v85, v85, v91
	v_fmac_f32_e32 v90, 0x3f2c7751, v92
	v_fmamk_f32 v91, v92, 0x3eb8f4ab, v80
	v_fmac_f32_e32 v80, 0xbeb8f4ab, v92
	v_add_f32_e32 v88, v95, v88
	v_add_f32_e32 v81, v81, v93
	v_add_f32_e32 v82, v82, v90
	v_mul_f32_e32 v90, 0x3dbcf732, v87
	v_mul_f32_e32 v87, 0xbf59a7d5, v87
	v_add_f32_e32 v80, v83, v80
	v_add_f32_e32 v83, v57, v55
	;; [unrolled: 1-line block ×4, first 2 shown]
	v_fmamk_f32 v91, v92, 0x3f7ee86f, v90
	v_fmac_f32_e32 v90, 0xbf7ee86f, v92
	v_fmamk_f32 v93, v92, 0x3f06c442, v87
	v_sub_f32_e32 v94, v56, v58
	v_mul_f32_e32 v95, 0x3dbcf732, v83
	v_fmac_f32_e32 v87, 0xbf06c442, v92
	v_add_f32_e32 v88, v88, v91
	v_add_f32_e32 v84, v84, v90
	v_mul_f32_e32 v91, 0xbf7ba420, v83
	v_fmamk_f32 v90, v94, 0x3f7ee86f, v95
	v_add_f32_e32 v61, v61, v87
	v_mul_f32_e32 v87, 0xbe8c1d8e, v83
	v_add_f32_e32 v77, v77, v93
	v_mul_f32_e32 v93, 0x3f6eb680, v83
	v_add_f32_e32 v74, v74, v90
	v_fmamk_f32 v90, v94, 0x3e3c28d5, v91
	v_fmac_f32_e32 v91, 0xbe3c28d5, v94
	v_fmamk_f32 v92, v94, 0xbf763a35, v87
	v_fmac_f32_e32 v87, 0x3f763a35, v94
	v_fmac_f32_e32 v95, 0xbf7ee86f, v94
	v_add_f32_e32 v73, v73, v90
	v_add_f32_e32 v78, v78, v91
	v_fmamk_f32 v90, v94, 0xbeb8f4ab, v93
	v_mul_f32_e32 v91, 0x3ee437d1, v83
	v_fmac_f32_e32 v93, 0x3eb8f4ab, v94
	v_add_f32_e32 v76, v76, v87
	v_mul_f32_e32 v87, 0xbf59a7d5, v83
	v_add_f32_e32 v79, v79, v92
	v_add_f32_e32 v85, v85, v90
	v_fmamk_f32 v90, v94, 0x3f65296c, v91
	v_add_f32_e32 v81, v81, v93
	v_fmamk_f32 v92, v94, 0x3f06c442, v87
	v_mul_f32_e32 v93, 0xbf1a4643, v83
	v_fmac_f32_e32 v87, 0xbf06c442, v94
	v_fmac_f32_e32 v91, 0xbf65296c, v94
	v_add_f32_e32 v89, v89, v90
	v_mul_f32_e32 v83, 0x3f3d2fb0, v83
	v_fmamk_f32 v90, v94, 0xbf4c4adb, v93
	v_add_f32_e32 v80, v80, v87
	v_add_f32_e32 v87, v53, v51
	;; [unrolled: 1-line block ×4, first 2 shown]
	v_fmac_f32_e32 v93, 0x3f4c4adb, v94
	v_add_f32_e32 v88, v88, v90
	v_fmamk_f32 v90, v94, 0xbf2c7751, v83
	v_sub_f32_e32 v91, v52, v54
	v_mul_f32_e32 v92, 0xbe8c1d8e, v87
	v_fmac_f32_e32 v83, 0x3f2c7751, v94
	v_add_f32_e32 v75, v75, v95
	v_add_f32_e32 v84, v84, v93
	;; [unrolled: 1-line block ×3, first 2 shown]
	v_mul_f32_e32 v90, 0xbf59a7d5, v87
	v_fmamk_f32 v93, v91, 0x3f763a35, v92
	v_fmac_f32_e32 v92, 0xbf763a35, v91
	v_add_f32_e32 v61, v61, v83
	v_mul_f32_e32 v83, 0x3f3d2fb0, v87
	v_fmamk_f32 v94, v91, 0xbf06c442, v90
	v_add_f32_e32 v74, v74, v93
	v_add_f32_e32 v75, v75, v92
	v_fmac_f32_e32 v90, 0x3f06c442, v91
	v_fmamk_f32 v92, v91, 0xbf2c7751, v83
	v_mul_f32_e32 v93, 0x3ee437d1, v87
	v_fmac_f32_e32 v83, 0x3f2c7751, v91
	v_add_f32_e32 v73, v73, v94
	v_add_f32_e32 v78, v78, v90
	;; [unrolled: 1-line block ×3, first 2 shown]
	v_mul_f32_e32 v90, 0xbf7ba420, v87
	v_fmamk_f32 v92, v91, 0x3f65296c, v93
	v_add_f32_e32 v76, v76, v83
	v_mul_f32_e32 v83, 0x3dbcf732, v87
	v_fmac_f32_e32 v93, 0xbf65296c, v91
	v_fmamk_f32 v94, v91, 0x3e3c28d5, v90
	v_add_f32_e32 v85, v85, v92
	v_fmac_f32_e32 v90, 0xbe3c28d5, v91
	v_fmamk_f32 v92, v91, 0xbf7ee86f, v83
	v_fmac_f32_e32 v83, 0x3f7ee86f, v91
	v_add_f32_e32 v81, v81, v93
	v_add_f32_e32 v89, v89, v94
	;; [unrolled: 1-line block ×3, first 2 shown]
	v_mul_f32_e32 v90, 0x3f6eb680, v87
	v_mul_f32_e32 v87, 0xbf1a4643, v87
	v_add_f32_e32 v80, v80, v83
	v_add_f32_e32 v83, v49, v47
	;; [unrolled: 1-line block ×3, first 2 shown]
	v_fmamk_f32 v92, v91, 0x3eb8f4ab, v90
	v_fmac_f32_e32 v90, 0xbeb8f4ab, v91
	v_fmamk_f32 v93, v91, 0x3f4c4adb, v87
	v_sub_f32_e32 v94, v48, v50
	v_mul_f32_e32 v95, 0xbf1a4643, v83
	v_fmac_f32_e32 v87, 0xbf4c4adb, v91
	v_add_f32_e32 v84, v84, v90
	v_mul_f32_e32 v91, 0xbe8c1d8e, v83
	v_add_f32_e32 v88, v88, v92
	v_fmamk_f32 v90, v94, 0x3f4c4adb, v95
	v_add_f32_e32 v61, v61, v87
	v_mul_f32_e32 v87, 0x3f6eb680, v83
	v_add_f32_e32 v77, v77, v93
	v_mul_f32_e32 v93, 0xbf59a7d5, v83
	v_add_f32_e32 v74, v74, v90
	v_fmamk_f32 v90, v94, 0xbf763a35, v91
	v_fmac_f32_e32 v91, 0x3f763a35, v94
	v_fmamk_f32 v92, v94, 0x3eb8f4ab, v87
	v_fmac_f32_e32 v87, 0xbeb8f4ab, v94
	v_fmac_f32_e32 v95, 0xbf4c4adb, v94
	v_add_f32_e32 v73, v73, v90
	v_add_f32_e32 v78, v78, v91
	v_fmamk_f32 v90, v94, 0x3f06c442, v93
	v_mul_f32_e32 v91, 0x3dbcf732, v83
	v_fmac_f32_e32 v93, 0xbf06c442, v94
	v_add_f32_e32 v76, v76, v87
	v_mul_f32_e32 v87, 0x3f3d2fb0, v83
	v_add_f32_e32 v79, v79, v92
	v_add_f32_e32 v85, v85, v90
	v_fmamk_f32 v90, v94, 0xbf7ee86f, v91
	v_add_f32_e32 v81, v81, v93
	v_fmamk_f32 v92, v94, 0x3f2c7751, v87
	v_mul_f32_e32 v93, 0xbf7ba420, v83
	v_fmac_f32_e32 v87, 0xbf2c7751, v94
	v_fmac_f32_e32 v91, 0x3f7ee86f, v94
	v_add_f32_e32 v89, v89, v90
	v_mul_f32_e32 v83, 0x3ee437d1, v83
	v_fmamk_f32 v90, v94, 0x3e3c28d5, v93
	v_add_f32_e32 v80, v80, v87
	v_add_f32_e32 v87, v45, v43
	;; [unrolled: 1-line block ×4, first 2 shown]
	v_fmac_f32_e32 v93, 0xbe3c28d5, v94
	v_add_f32_e32 v88, v88, v90
	v_fmamk_f32 v90, v94, 0xbf65296c, v83
	v_sub_f32_e32 v91, v44, v46
	v_mul_f32_e32 v92, 0xbf59a7d5, v87
	v_fmac_f32_e32 v83, 0x3f65296c, v94
	v_add_f32_e32 v75, v75, v95
	v_add_f32_e32 v84, v84, v93
	v_add_f32_e32 v77, v77, v90
	v_mul_f32_e32 v90, 0x3ee437d1, v87
	v_fmamk_f32 v93, v91, 0x3f06c442, v92
	v_fmac_f32_e32 v92, 0xbf06c442, v91
	v_add_f32_e32 v61, v61, v83
	v_mul_f32_e32 v83, 0x3dbcf732, v87
	v_fmamk_f32 v94, v91, 0xbf65296c, v90
	v_add_f32_e32 v74, v74, v93
	v_add_f32_e32 v75, v75, v92
	v_fmac_f32_e32 v90, 0x3f65296c, v91
	v_fmamk_f32 v92, v91, 0x3f7ee86f, v83
	v_mul_f32_e32 v93, 0xbf1a4643, v87
	v_fmac_f32_e32 v83, 0xbf7ee86f, v91
	v_add_f32_e32 v73, v73, v94
	v_add_f32_e32 v78, v78, v90
	;; [unrolled: 1-line block ×3, first 2 shown]
	v_mul_f32_e32 v90, 0x3f6eb680, v87
	v_fmamk_f32 v92, v91, 0xbf4c4adb, v93
	v_add_f32_e32 v76, v76, v83
	v_mul_f32_e32 v83, 0xbf7ba420, v87
	v_fmac_f32_e32 v93, 0x3f4c4adb, v91
	v_fmamk_f32 v94, v91, 0x3eb8f4ab, v90
	v_add_f32_e32 v85, v85, v92
	v_fmac_f32_e32 v90, 0xbeb8f4ab, v91
	v_fmamk_f32 v92, v91, 0x3e3c28d5, v83
	v_fmac_f32_e32 v83, 0xbe3c28d5, v91
	v_add_f32_e32 v81, v81, v93
	v_add_f32_e32 v89, v89, v94
	;; [unrolled: 1-line block ×3, first 2 shown]
	v_mul_f32_e32 v90, 0x3f3d2fb0, v87
	v_mul_f32_e32 v87, 0xbe8c1d8e, v87
	v_add_f32_e32 v80, v80, v83
	v_add_f32_e32 v83, v41, v39
	;; [unrolled: 1-line block ×3, first 2 shown]
	v_fmamk_f32 v92, v91, 0xbf2c7751, v90
	v_fmac_f32_e32 v90, 0x3f2c7751, v91
	v_fmamk_f32 v93, v91, 0x3f763a35, v87
	v_sub_f32_e32 v94, v40, v42
	v_mul_f32_e32 v95, 0xbf7ba420, v83
	v_fmac_f32_e32 v87, 0xbf763a35, v91
	v_add_f32_e32 v84, v84, v90
	v_mul_f32_e32 v91, 0x3f6eb680, v83
	v_add_f32_e32 v88, v88, v92
	v_fmamk_f32 v90, v94, 0x3e3c28d5, v95
	v_fmac_f32_e32 v95, 0xbe3c28d5, v94
	v_add_f32_e32 v61, v61, v87
	v_mul_f32_e32 v87, 0xbf59a7d5, v83
	v_add_f32_e32 v77, v77, v93
	v_add_f32_e32 v74, v74, v90
	v_fmamk_f32 v90, v94, 0xbeb8f4ab, v91
	v_add_f32_e32 v92, v75, v95
	v_fmamk_f32 v75, v94, 0x3f06c442, v87
	v_mul_f32_e32 v93, 0x3f3d2fb0, v83
	v_fmac_f32_e32 v87, 0xbf06c442, v94
	v_add_f32_e32 v73, v73, v90
	v_mul_f32_e32 v90, 0xbf1a4643, v83
	v_add_f32_e32 v79, v79, v75
	v_fmamk_f32 v75, v94, 0xbf2c7751, v93
	v_fmac_f32_e32 v91, 0x3eb8f4ab, v94
	v_add_f32_e32 v76, v76, v87
	v_mul_f32_e32 v87, 0x3ee437d1, v83
	v_lshlrev_b32_e32 v25, 2, v25
	v_add_f32_e32 v85, v85, v75
	v_fmamk_f32 v75, v94, 0x3f4c4adb, v90
	v_fmac_f32_e32 v90, 0xbf4c4adb, v94
	v_add_f32_e32 v78, v78, v91
	v_fmamk_f32 v91, v94, 0xbf65296c, v87
	v_fmac_f32_e32 v87, 0x3f65296c, v94
	v_add_f32_e32 v89, v89, v75
	v_mul_u32_u24_e32 v75, 0x44, v0
	v_add_f32_e32 v82, v82, v90
	v_mul_f32_e32 v90, 0xbe8c1d8e, v83
	v_mul_f32_e32 v83, 0x3dbcf732, v83
	v_add_f32_e32 v80, v80, v87
	v_add3_u32 v75, 0, v75, v25
	ds_write2_b32 v75, v16, v74 offset1:1
	ds_write2_b32 v75, v73, v79 offset0:2 offset1:3
	v_fmamk_f32 v87, v94, 0x3f763a35, v90
	v_fmac_f32_e32 v90, 0xbf763a35, v94
	v_add_nc_u32_e32 v73, 17, v0
	v_fmac_f32_e32 v93, 0x3f2c7751, v94
	v_add_f32_e32 v86, v86, v91
	v_fmamk_f32 v91, v94, 0xbf7ee86f, v83
	v_fmac_f32_e32 v83, 0x3f7ee86f, v94
	v_add_f32_e32 v84, v84, v90
	v_cmp_gt_u32_e64 s0, 8, v0
	v_mul_u32_u24_e32 v74, 0x44, v73
	v_add_f32_e32 v81, v81, v93
	v_add_f32_e32 v87, v88, v87
	;; [unrolled: 1-line block ×4, first 2 shown]
	ds_write2_b32 v75, v85, v89 offset0:4 offset1:5
	ds_write2_b32 v75, v86, v87 offset0:6 offset1:7
	ds_write2_b32 v75, v77, v61 offset0:8 offset1:9
	ds_write2_b32 v75, v84, v80 offset0:10 offset1:11
	ds_write2_b32 v75, v82, v81 offset0:12 offset1:13
	ds_write2_b32 v75, v76, v78 offset0:14 offset1:15
	ds_write_b32 v75, v92 offset:64
	s_and_saveexec_b32 s1, s0
	s_cbranch_execz .LBB0_14
; %bb.13:
	v_sub_f32_e32 v84, v38, v34
	v_add_f32_e32 v79, v37, v33
	v_sub_f32_e32 v85, v36, v32
	v_add_f32_e32 v76, v35, v31
	v_sub_f32_e32 v86, v28, v30
	v_mul_f32_e32 v89, 0xbe3c28d5, v84
	v_add_f32_e32 v16, v27, v29
	v_mul_f32_e32 v90, 0x3eb8f4ab, v85
	v_sub_f32_e32 v82, v22, v24
	v_mul_f32_e32 v91, 0xbf06c442, v86
	v_fmamk_f32 v78, v79, 0xbf7ba420, v89
	v_add_f32_e32 v61, v21, v23
	v_fmamk_f32 v80, v76, 0x3f6eb680, v90
	v_sub_f32_e32 v83, v18, v20
	v_mul_f32_e32 v92, 0x3f2c7751, v82
	v_add_f32_e32 v81, v1, v78
	v_fmamk_f32 v93, v16, 0xbf59a7d5, v91
	v_add_f32_e32 v77, v17, v19
	v_sub_f32_e32 v87, v13, v15
	v_mul_f32_e32 v94, 0xbf4c4adb, v83
	v_add_f32_e32 v81, v81, v80
	v_fmamk_f32 v95, v61, 0x3f3d2fb0, v92
	v_add_f32_e32 v78, v12, v14
	v_sub_f32_e32 v88, v9, v11
	v_mul_f32_e32 v96, 0x3f65296c, v87
	v_add_f32_e32 v93, v81, v93
	v_fmamk_f32 v97, v77, 0xbf1a4643, v94
	v_fma_f32 v89, 0xbf7ba420, v79, -v89
	v_add_f32_e32 v80, v8, v10
	v_fmamk_f32 v98, v78, 0x3ee437d1, v96
	v_add_f32_e32 v93, v93, v95
	v_mul_f32_e32 v95, 0xbf763a35, v88
	v_fma_f32 v90, 0x3f6eb680, v76, -v90
	v_add_f32_e32 v89, v1, v89
	v_fma_f32 v91, 0xbf59a7d5, v16, -v91
	v_add_f32_e32 v93, v93, v97
	v_mul_f32_e32 v97, 0xbf06c442, v84
	v_fmamk_f32 v99, v80, 0xbe8c1d8e, v95
	v_add_f32_e32 v89, v89, v90
	v_add_f32_e32 v81, v4, v6
	;; [unrolled: 1-line block ×3, first 2 shown]
	v_sub_f32_e32 v93, v5, v7
	v_mul_f32_e32 v98, 0x3f65296c, v85
	v_fmamk_f32 v100, v79, 0xbf59a7d5, v97
	v_add_f32_e32 v89, v89, v91
	v_add_f32_e32 v90, v90, v99
	v_fma_f32 v91, 0x3f3d2fb0, v61, -v92
	v_mul_f32_e32 v92, 0x3f7ee86f, v93
	v_add_f32_e32 v99, v1, v100
	v_fmamk_f32 v100, v76, 0x3ee437d1, v98
	v_mul_f32_e32 v101, 0xbf7ee86f, v86
	v_add_f32_e32 v89, v89, v91
	v_fma_f32 v91, 0xbf1a4643, v77, -v94
	v_fmamk_f32 v94, v81, 0x3dbcf732, v92
	v_add_f32_e32 v99, v99, v100
	v_fmamk_f32 v100, v16, 0x3dbcf732, v101
	v_mul_f32_e32 v102, 0x3f4c4adb, v82
	v_add_f32_e32 v89, v89, v91
	v_fma_f32 v91, 0x3ee437d1, v78, -v96
	v_add_f32_e32 v90, v90, v94
	v_add_f32_e32 v94, v99, v100
	v_fmamk_f32 v96, v61, 0xbf1a4643, v102
	v_mul_f32_e32 v99, 0xbeb8f4ab, v83
	v_add_f32_e32 v89, v89, v91
	v_fma_f32 v91, 0xbf59a7d5, v79, -v97
	v_fma_f32 v95, 0xbe8c1d8e, v80, -v95
	v_add_f32_e32 v94, v94, v96
	v_fmamk_f32 v96, v77, 0x3f6eb680, v99
	v_mul_f32_e32 v97, 0xbe3c28d5, v87
	v_add_f32_e32 v91, v1, v91
	v_fma_f32 v98, 0x3ee437d1, v76, -v98
	v_add_f32_e32 v89, v89, v95
	v_add_f32_e32 v94, v94, v96
	v_fmamk_f32 v95, v78, 0xbf7ba420, v97
	v_mul_f32_e32 v96, 0x3f2c7751, v88
	v_add_f32_e32 v91, v91, v98
	v_fma_f32 v98, 0x3dbcf732, v16, -v101
	v_fma_f32 v92, 0x3dbcf732, v81, -v92
	v_add_f32_e32 v94, v94, v95
	v_fmamk_f32 v95, v80, 0x3f3d2fb0, v96
	v_mul_f32_e32 v100, 0xbf4c4adb, v84
	v_add_f32_e32 v91, v91, v98
	v_fma_f32 v98, 0xbf1a4643, v61, -v102
	v_add_f32_e32 v89, v89, v92
	v_add_f32_e32 v92, v94, v95
	v_fmamk_f32 v94, v79, 0xbf1a4643, v100
	v_mul_f32_e32 v95, 0x3f763a35, v85
	v_add_f32_e32 v91, v91, v98
	v_fma_f32 v98, 0x3f6eb680, v77, -v99
	v_mul_f32_e32 v99, 0xbf763a35, v93
	v_add_f32_e32 v94, v1, v94
	v_fmamk_f32 v101, v76, 0xbe8c1d8e, v95
	v_mul_f32_e32 v102, 0xbeb8f4ab, v86
	v_add_f32_e32 v91, v91, v98
	v_fma_f32 v97, 0xbf7ba420, v78, -v97
	v_fmamk_f32 v98, v81, 0xbe8c1d8e, v99
	v_add_f32_e32 v94, v94, v101
	v_fmamk_f32 v101, v16, 0x3f6eb680, v102
	v_mul_f32_e32 v103, 0xbf06c442, v82
	v_add_f32_e32 v91, v91, v97
	v_fma_f32 v96, 0x3f3d2fb0, v80, -v96
	v_add_f32_e32 v92, v92, v98
	v_add_f32_e32 v94, v94, v101
	v_fmamk_f32 v97, v61, 0xbf59a7d5, v103
	v_mul_f32_e32 v98, 0x3f7ee86f, v83
	v_add_f32_e32 v91, v91, v96
	v_fma_f32 v96, 0xbe8c1d8e, v81, -v99
	v_fma_f32 v99, 0xbf1a4643, v79, -v100
	v_add_f32_e32 v94, v94, v97
	v_fmamk_f32 v97, v77, 0x3dbcf732, v98
	v_mul_f32_e32 v100, 0xbf2c7751, v87
	v_add_f32_e32 v91, v91, v96
	v_add_f32_e32 v96, v1, v99
	v_fma_f32 v95, 0xbe8c1d8e, v76, -v95
	v_add_f32_e32 v94, v94, v97
	v_fmamk_f32 v97, v78, 0x3f3d2fb0, v100
	v_mul_f32_e32 v99, 0xbf763a35, v84
	v_mul_f32_e32 v105, 0x3f2c7751, v86
	v_add_f32_e32 v95, v96, v95
	v_fma_f32 v96, 0x3f6eb680, v16, -v102
	v_add_f32_e32 v94, v94, v97
	v_fmamk_f32 v97, v79, 0xbe8c1d8e, v99
	v_mul_f32_e32 v102, 0x3f06c442, v85
	v_mul_f32_e32 v101, 0xbe3c28d5, v88
	v_add_f32_e32 v95, v95, v96
	v_fma_f32 v96, 0xbf59a7d5, v61, -v103
	v_add_f32_e32 v97, v1, v97
	v_fmamk_f32 v103, v76, 0xbf59a7d5, v102
	v_fma_f32 v99, 0xbe8c1d8e, v79, -v99
	v_fmamk_f32 v104, v80, 0xbf7ba420, v101
	v_add_f32_e32 v95, v95, v96
	v_fma_f32 v96, 0x3dbcf732, v77, -v98
	v_add_f32_e32 v97, v97, v103
	v_fmamk_f32 v98, v16, 0x3f3d2fb0, v105
	v_mul_f32_e32 v103, 0xbf65296c, v82
	v_add_f32_e32 v99, v1, v99
	v_add_f32_e32 v95, v95, v96
	v_fma_f32 v96, 0x3f3d2fb0, v78, -v100
	v_add_f32_e32 v97, v97, v98
	v_fmamk_f32 v98, v61, 0x3ee437d1, v103
	v_mul_f32_e32 v100, 0xbe3c28d5, v83
	v_fma_f32 v102, 0xbf59a7d5, v76, -v102
	v_add_f32_e32 v94, v94, v104
	v_mul_f32_e32 v104, 0x3f65296c, v93
	v_add_f32_e32 v95, v95, v96
	v_fma_f32 v96, 0xbf7ba420, v80, -v101
	v_add_f32_e32 v97, v97, v98
	v_fmamk_f32 v98, v77, 0xbf7ba420, v100
	v_mul_f32_e32 v101, 0x3f7ee86f, v87
	v_add_f32_e32 v99, v99, v102
	v_fma_f32 v102, 0x3f3d2fb0, v16, -v105
	v_fmamk_f32 v106, v81, 0x3ee437d1, v104
	v_add_f32_e32 v95, v95, v96
	v_add_f32_e32 v96, v97, v98
	v_fmamk_f32 v97, v78, 0x3dbcf732, v101
	v_mul_f32_e32 v98, 0xbeb8f4ab, v88
	v_add_f32_e32 v99, v99, v102
	v_fma_f32 v102, 0x3ee437d1, v61, -v103
	v_add_f32_e32 v94, v94, v106
	v_fma_f32 v104, 0x3ee437d1, v81, -v104
	v_add_f32_e32 v96, v96, v97
	v_fmamk_f32 v97, v80, 0x3f6eb680, v98
	v_mul_f32_e32 v106, 0xbf7ee86f, v84
	v_add_f32_e32 v99, v99, v102
	v_fma_f32 v100, 0xbf7ba420, v77, -v100
	v_add_f32_e32 v95, v95, v104
	v_add_f32_e32 v96, v96, v97
	v_fmamk_f32 v97, v79, 0x3dbcf732, v106
	v_mul_f32_e32 v104, 0xbe3c28d5, v85
	v_add_f32_e32 v99, v99, v100
	v_fma_f32 v100, 0x3dbcf732, v78, -v101
	v_mul_f32_e32 v103, 0xbf4c4adb, v93
	v_add_f32_e32 v97, v1, v97
	v_fmamk_f32 v105, v76, 0xbf7ba420, v104
	v_mul_f32_e32 v107, 0x3f763a35, v86
	v_add_f32_e32 v99, v99, v100
	v_fma_f32 v98, 0x3f6eb680, v80, -v98
	v_fma_f32 v100, 0x3dbcf732, v79, -v106
	v_fmamk_f32 v102, v81, 0xbf1a4643, v103
	v_add_f32_e32 v97, v97, v105
	v_fmamk_f32 v105, v16, 0xbe8c1d8e, v107
	v_mul_f32_e32 v108, 0x3eb8f4ab, v82
	v_add_f32_e32 v98, v99, v98
	v_add_f32_e32 v99, v1, v100
	v_fma_f32 v100, 0xbf7ba420, v76, -v104
	v_add_f32_e32 v96, v96, v102
	v_add_f32_e32 v97, v97, v105
	v_fmamk_f32 v101, v61, 0x3f6eb680, v108
	v_mul_f32_e32 v102, 0xbf65296c, v83
	v_add_f32_e32 v99, v99, v100
	v_fma_f32 v100, 0xbe8c1d8e, v16, -v107
	v_mul_f32_e32 v105, 0xbf06c442, v87
	v_add_f32_e32 v97, v97, v101
	v_fmamk_f32 v101, v77, 0x3ee437d1, v102
	v_mul_f32_e32 v104, 0x3f4c4adb, v88
	v_add_f32_e32 v99, v99, v100
	v_fma_f32 v100, 0x3f6eb680, v61, -v108
	v_fma_f32 v103, 0xbf1a4643, v81, -v103
	v_add_f32_e32 v97, v97, v101
	v_fmamk_f32 v101, v78, 0xbf59a7d5, v105
	v_mul_f32_e32 v106, 0xbf65296c, v84
	v_add_f32_e32 v99, v99, v100
	v_fma_f32 v100, 0x3ee437d1, v77, -v102
	v_add_f32_e32 v98, v98, v103
	v_add_f32_e32 v97, v97, v101
	v_fmamk_f32 v101, v80, 0xbf1a4643, v104
	v_mul_f32_e32 v103, 0xbf4c4adb, v85
	v_add_f32_e32 v99, v99, v100
	v_fma_f32 v100, 0xbf59a7d5, v78, -v105
	v_mul_f32_e32 v108, 0x3e3c28d5, v86
	v_add_f32_e32 v97, v97, v101
	v_fmamk_f32 v101, v79, 0x3ee437d1, v106
	v_fmamk_f32 v102, v76, 0xbf1a4643, v103
	v_add_f32_e32 v99, v99, v100
	v_fma_f32 v100, 0x3ee437d1, v79, -v106
	v_fma_f32 v103, 0xbf1a4643, v76, -v103
	v_add_f32_e32 v101, v1, v101
	v_mul_f32_e32 v107, 0x3f2c7751, v93
	v_mul_f32_e32 v105, 0x3f763a35, v82
	v_add_f32_e32 v100, v1, v100
	v_fma_f32 v104, 0xbf1a4643, v80, -v104
	v_add_f32_e32 v101, v101, v102
	v_fmamk_f32 v102, v16, 0xbf7ba420, v108
	v_fmamk_f32 v109, v81, 0x3f3d2fb0, v107
	v_add_f32_e32 v100, v100, v103
	v_fma_f32 v103, 0xbf7ba420, v16, -v108
	v_mul_f32_e32 v106, 0x3f2c7751, v83
	v_add_f32_e32 v101, v101, v102
	v_fmamk_f32 v102, v61, 0xbe8c1d8e, v105
	v_add_f32_e32 v99, v99, v104
	v_fma_f32 v107, 0x3f3d2fb0, v81, -v107
	v_add_f32_e32 v100, v100, v103
	v_fma_f32 v103, 0xbe8c1d8e, v61, -v105
	v_mul_f32_e32 v105, 0xbf2c7751, v84
	v_add_f32_e32 v97, v97, v109
	v_add_f32_e32 v101, v101, v102
	v_fmamk_f32 v102, v77, 0x3f3d2fb0, v106
	v_mul_f32_e32 v109, 0xbeb8f4ab, v87
	v_add_f32_e32 v99, v99, v107
	v_add_f32_e32 v100, v100, v103
	v_fma_f32 v103, 0x3f3d2fb0, v77, -v106
	v_fmamk_f32 v106, v79, 0x3f3d2fb0, v105
	v_mul_f32_e32 v107, 0xbf7ee86f, v85
	v_add_f32_e32 v101, v101, v102
	v_fmamk_f32 v102, v78, 0x3f6eb680, v109
	v_mul_f32_e32 v104, 0xbf7ee86f, v88
	v_add_f32_e32 v100, v100, v103
	v_fma_f32 v103, 0x3f6eb680, v78, -v109
	v_add_f32_e32 v106, v1, v106
	v_fmamk_f32 v109, v76, 0x3dbcf732, v107
	v_mul_f32_e32 v110, 0xbf4c4adb, v86
	v_add_f32_e32 v101, v101, v102
	v_fmamk_f32 v102, v80, 0x3dbcf732, v104
	v_add_f32_e32 v100, v100, v103
	v_fma_f32 v103, 0x3dbcf732, v80, -v104
	v_fma_f32 v104, 0x3f3d2fb0, v79, -v105
	v_add_f32_e32 v105, v106, v109
	v_fmamk_f32 v106, v16, 0xbf1a4643, v110
	v_mul_f32_e32 v109, 0xbe3c28d5, v82
	v_add_f32_e32 v100, v100, v103
	v_add_f32_e32 v103, v1, v104
	v_fma_f32 v104, 0x3dbcf732, v76, -v107
	v_add_f32_e32 v105, v105, v106
	v_fmamk_f32 v106, v61, 0xbf7ba420, v109
	v_add_f32_e32 v101, v101, v102
	v_mul_f32_e32 v102, 0xbf06c442, v93
	v_add_f32_e32 v103, v103, v104
	v_fma_f32 v104, 0xbf1a4643, v16, -v110
	v_add_f32_e32 v105, v105, v106
	v_add_f32_e32 v106, v1, v37
	v_fmamk_f32 v108, v81, 0xbf59a7d5, v102
	v_fma_f32 v102, 0xbf59a7d5, v81, -v102
	v_add_f32_e32 v103, v103, v104
	v_fma_f32 v104, 0xbf7ba420, v61, -v109
	v_add_f32_e32 v106, v106, v35
	v_mul_f32_e32 v107, 0x3f06c442, v83
	v_add_f32_e32 v100, v100, v102
	v_mul_f32_e32 v111, 0x3f763a35, v87
	v_add_f32_e32 v103, v103, v104
	v_add_f32_e32 v104, v106, v27
	v_fmamk_f32 v110, v77, 0xbf59a7d5, v107
	v_fma_f32 v106, 0xbf59a7d5, v77, -v107
	v_fmamk_f32 v109, v78, 0xbe8c1d8e, v111
	v_mul_f32_e32 v84, 0xbeb8f4ab, v84
	v_add_f32_e32 v102, v104, v21
	v_add_f32_e32 v105, v105, v110
	v_mul_f32_e32 v110, 0x3f65296c, v88
	v_add_f32_e32 v103, v103, v106
	v_fma_f32 v104, 0xbe8c1d8e, v78, -v111
	v_add_f32_e32 v102, v102, v17
	v_add_f32_e32 v105, v105, v109
	v_fma_f32 v109, 0x3f6eb680, v79, -v84
	v_mul_f32_e32 v85, 0xbf2c7751, v85
	v_add_f32_e32 v103, v103, v104
	v_add_f32_e32 v102, v102, v12
	v_fma_f32 v104, 0x3ee437d1, v80, -v110
	v_fmamk_f32 v79, v79, 0x3f6eb680, v84
	v_mul_f32_e32 v86, 0xbf65296c, v86
	v_mul_f32_e32 v82, 0xbf7ee86f, v82
	v_add_f32_e32 v84, v102, v8
	v_add_f32_e32 v103, v103, v104
	;; [unrolled: 1-line block ×3, first 2 shown]
	v_fma_f32 v104, 0x3f3d2fb0, v76, -v85
	v_add_f32_e32 v1, v1, v79
	v_add_f32_e32 v79, v84, v4
	v_fmamk_f32 v76, v76, 0x3f3d2fb0, v85
	v_fma_f32 v85, 0x3ee437d1, v16, -v86
	v_add_f32_e32 v84, v102, v104
	v_fmamk_f32 v16, v16, 0x3ee437d1, v86
	v_add_f32_e32 v79, v79, v6
	v_add_f32_e32 v1, v1, v76
	v_mul_f32_e32 v83, 0xbf763a35, v83
	v_add_f32_e32 v76, v84, v85
	v_fma_f32 v84, 0x3dbcf732, v61, -v82
	v_add_f32_e32 v79, v10, v79
	v_add_f32_e32 v1, v1, v16
	v_fmamk_f32 v16, v61, 0x3dbcf732, v82
	v_mul_f32_e32 v82, 0xbf4c4adb, v87
	v_add_f32_e32 v61, v76, v84
	v_add_f32_e32 v76, v14, v79
	v_fma_f32 v79, 0xbe8c1d8e, v77, -v83
	v_add_f32_e32 v1, v1, v16
	v_fmamk_f32 v16, v77, 0xbe8c1d8e, v83
	v_fma_f32 v77, 0xbf1a4643, v78, -v82
	v_add_f32_e32 v76, v19, v76
	v_add_f32_e32 v61, v61, v79
	v_mul_f32_e32 v79, 0xbf06c442, v88
	v_add_f32_e32 v1, v1, v16
	v_mul_f32_e32 v106, 0x3eb8f4ab, v93
	v_add_f32_e32 v16, v23, v76
	v_fmamk_f32 v76, v78, 0xbf1a4643, v82
	v_add_f32_e32 v61, v61, v77
	v_fma_f32 v77, 0xbf59a7d5, v80, -v79
	v_mul_f32_e32 v78, 0xbe3c28d5, v93
	v_add_f32_e32 v16, v29, v16
	v_fmamk_f32 v107, v80, 0x3ee437d1, v110
	v_add_f32_e32 v1, v1, v76
	v_fmamk_f32 v76, v80, 0xbf59a7d5, v79
	v_add_f32_e32 v61, v61, v77
	v_fma_f32 v77, 0xbf7ba420, v81, -v78
	v_add_f32_e32 v16, v31, v16
	v_fma_f32 v79, 0x3f6eb680, v81, -v106
	v_add_f32_e32 v105, v105, v107
	v_fmamk_f32 v107, v81, 0x3f6eb680, v106
	v_add_f32_e32 v1, v1, v76
	v_fmamk_f32 v76, v81, 0xbf7ba420, v78
	v_add_f32_e32 v61, v61, v77
	v_add_f32_e32 v16, v33, v16
	v_add3_u32 v77, 0, v74, v25
	v_add_f32_e32 v78, v103, v79
	v_add_f32_e32 v79, v101, v108
	;; [unrolled: 1-line block ×4, first 2 shown]
	ds_write2_b32 v77, v16, v61 offset1:1
	ds_write2_b32 v77, v78, v100 offset0:2 offset1:3
	ds_write2_b32 v77, v99, v98 offset0:4 offset1:5
	;; [unrolled: 1-line block ×7, first 2 shown]
	ds_write_b32 v77, v1 offset:64
.LBB0_14:
	s_or_b32 exec_lo, exec_lo, s1
	v_add_f32_e32 v1, v62, v72
	v_sub_f32_e32 v16, v71, v65
	v_add_f32_e32 v61, v66, v72
	v_add_f32_e32 v65, v68, v70
	v_sub_f32_e32 v67, v69, v67
	v_add_f32_e32 v1, v1, v70
	v_mul_f32_e32 v69, 0xbeb8f4ab, v16
	v_mul_f32_e32 v70, 0xbf2c7751, v16
	;; [unrolled: 1-line block ×4, first 2 shown]
	v_add_f32_e32 v1, v1, v60
	v_mul_f32_e32 v76, 0xbf763a35, v16
	v_mul_f32_e32 v77, 0xbf4c4adb, v16
	;; [unrolled: 1-line block ×4, first 2 shown]
	v_add_f32_e32 v1, v1, v56
	v_mul_f32_e32 v79, 0xbf2c7751, v67
	v_mul_f32_e32 v80, 0xbf7ee86f, v67
	;; [unrolled: 1-line block ×3, first 2 shown]
	v_fmamk_f32 v84, v61, 0x3f6eb680, v69
	v_add_f32_e32 v1, v1, v52
	v_fma_f32 v69, 0x3f6eb680, v61, -v69
	v_fmamk_f32 v85, v61, 0x3f3d2fb0, v70
	v_fma_f32 v70, 0x3f3d2fb0, v61, -v70
	v_fmamk_f32 v86, v61, 0x3ee437d1, v71
	v_add_f32_e32 v1, v1, v48
	v_fma_f32 v71, 0x3ee437d1, v61, -v71
	v_mul_f32_e32 v82, 0xbe3c28d5, v67
	v_mul_f32_e32 v83, 0x3f06c442, v67
	v_fmamk_f32 v87, v61, 0x3dbcf732, v72
	v_add_f32_e32 v1, v1, v44
	v_fma_f32 v72, 0x3dbcf732, v61, -v72
	v_fmamk_f32 v88, v61, 0xbe8c1d8e, v76
	v_fma_f32 v76, 0xbe8c1d8e, v61, -v76
	v_fmamk_f32 v89, v61, 0xbf1a4643, v77
	v_add_f32_e32 v1, v1, v40
	v_fma_f32 v77, 0xbf1a4643, v61, -v77
	v_fmamk_f32 v90, v61, 0xbf59a7d5, v78
	v_fma_f32 v78, 0xbf59a7d5, v61, -v78
	;; [unrolled: 5-line block ×4, first 2 shown]
	v_add_f32_e32 v69, v69, v62
	v_add_f32_e32 v1, v50, v1
	v_add_f32_e32 v70, v70, v62
	v_add_f32_e32 v71, v71, v62
	v_add_f32_e32 v84, v84, v62
	v_add_f32_e32 v85, v85, v62
	v_add_f32_e32 v1, v54, v1
	v_add_f32_e32 v86, v86, v62
	v_add_f32_e32 v87, v87, v62
	v_add_f32_e32 v72, v72, v62
	v_add_f32_e32 v88, v88, v62
	v_add_f32_e32 v1, v58, v1
	v_add_f32_e32 v76, v76, v62
	v_add_f32_e32 v89, v89, v62
	v_add_f32_e32 v77, v77, v62
	v_add_f32_e32 v90, v90, v62
	v_add_f32_e32 v1, v64, v1
	v_add_f32_e32 v78, v78, v62
	v_add_f32_e32 v91, v91, v62
	v_add_f32_e32 v16, v16, v62
	v_add_f32_e32 v62, v69, v79
	v_add_f32_e32 v1, v68, v1
	v_add_f32_e32 v69, v70, v80
	v_mul_f32_e32 v80, 0x3f763a35, v67
	v_sub_f32_e32 v59, v59, v63
	v_add_f32_e32 v60, v64, v60
	v_add_f32_e32 v79, v66, v1
	v_fmamk_f32 v1, v65, 0xbf7ba420, v82
	v_add_f32_e32 v66, v71, v81
	v_fma_f32 v71, 0xbf7ba420, v65, -v82
	v_fma_f32 v82, 0xbf59a7d5, v65, -v83
	v_fmamk_f32 v81, v65, 0xbf59a7d5, v83
	v_mul_f32_e32 v64, 0xbf65296c, v59
	v_add_f32_e32 v61, v84, v61
	v_add_f32_e32 v71, v72, v71
	v_fmamk_f32 v72, v65, 0xbe8c1d8e, v80
	v_fma_f32 v80, 0xbe8c1d8e, v65, -v80
	v_add_f32_e32 v76, v76, v82
	v_mul_f32_e32 v82, 0x3f65296c, v67
	v_mul_f32_e32 v67, 0x3eb8f4ab, v67
	;; [unrolled: 1-line block ×3, first 2 shown]
	v_add_f32_e32 v77, v77, v80
	v_add_f32_e32 v68, v85, v92
	v_fmamk_f32 v63, v65, 0x3ee437d1, v82
	v_fma_f32 v80, 0x3ee437d1, v65, -v82
	v_fmamk_f32 v82, v65, 0x3f6eb680, v67
	v_fma_f32 v65, 0x3f6eb680, v65, -v67
	v_add_f32_e32 v70, v86, v93
	v_add_f32_e32 v1, v87, v1
	;; [unrolled: 1-line block ×4, first 2 shown]
	v_fmamk_f32 v80, v60, 0x3ee437d1, v64
	v_mul_f32_e32 v82, 0xbf4c4adb, v59
	v_add_f32_e32 v16, v16, v65
	v_fma_f32 v64, 0x3ee437d1, v60, -v64
	v_mul_f32_e32 v65, 0x3e3c28d5, v59
	v_add_f32_e32 v61, v61, v80
	v_fmamk_f32 v80, v60, 0xbf1a4643, v82
	v_fma_f32 v82, 0xbf1a4643, v60, -v82
	v_add_f32_e32 v62, v62, v64
	v_fmamk_f32 v64, v60, 0xbf7ba420, v65
	v_fma_f32 v65, 0xbf7ba420, v60, -v65
	v_add_f32_e32 v68, v68, v80
	v_add_f32_e32 v69, v69, v82
	v_fma_f32 v82, 0xbe8c1d8e, v60, -v83
	v_add_f32_e32 v64, v70, v64
	v_add_f32_e32 v65, v66, v65
	v_mul_f32_e32 v66, 0xbeb8f4ab, v59
	v_fmamk_f32 v70, v60, 0xbe8c1d8e, v83
	v_mul_f32_e32 v80, 0x3f2c7751, v59
	v_add_f32_e32 v71, v71, v82
	v_mul_f32_e32 v83, 0xbf7ee86f, v59
	v_fmamk_f32 v82, v60, 0x3f6eb680, v66
	v_fma_f32 v66, 0x3f6eb680, v60, -v66
	v_mul_f32_e32 v59, 0xbf06c442, v59
	v_sub_f32_e32 v55, v55, v57
	v_add_f32_e32 v1, v1, v70
	v_fmamk_f32 v70, v60, 0x3f3d2fb0, v80
	v_fma_f32 v80, 0x3f3d2fb0, v60, -v80
	v_add_f32_e32 v66, v77, v66
	v_fma_f32 v57, 0x3dbcf732, v60, -v83
	v_fmamk_f32 v77, v60, 0xbf59a7d5, v59
	v_add_f32_e32 v56, v58, v56
	v_mul_f32_e32 v58, 0xbf7ee86f, v55
	v_fma_f32 v59, 0xbf59a7d5, v60, -v59
	v_add_f32_e32 v76, v76, v80
	v_fmamk_f32 v80, v60, 0x3dbcf732, v83
	v_add_f32_e32 v57, v67, v57
	v_add_f32_e32 v60, v78, v77
	v_mul_f32_e32 v67, 0xbe3c28d5, v55
	v_fmamk_f32 v77, v56, 0x3dbcf732, v58
	v_fma_f32 v58, 0x3dbcf732, v56, -v58
	v_add_f32_e32 v16, v16, v59
	v_mul_f32_e32 v59, 0x3f763a35, v55
	v_fmamk_f32 v78, v56, 0xbf7ba420, v67
	v_add_f32_e32 v61, v61, v77
	v_add_f32_e32 v58, v62, v58
	v_fma_f32 v62, 0xbf7ba420, v56, -v67
	v_fmamk_f32 v67, v56, 0xbe8c1d8e, v59
	v_mul_f32_e32 v77, 0x3eb8f4ab, v55
	v_fma_f32 v59, 0xbe8c1d8e, v56, -v59
	v_add_f32_e32 v72, v89, v72
	v_add_f32_e32 v68, v68, v78
	;; [unrolled: 1-line block ×3, first 2 shown]
	v_mul_f32_e32 v67, 0xbf65296c, v55
	v_add_f32_e32 v62, v69, v62
	v_fmamk_f32 v69, v56, 0x3f6eb680, v77
	v_add_f32_e32 v59, v65, v59
	v_fma_f32 v65, 0x3f6eb680, v56, -v77
	v_mul_f32_e32 v77, 0xbf06c442, v55
	v_fmamk_f32 v78, v56, 0x3ee437d1, v67
	v_fma_f32 v67, 0x3ee437d1, v56, -v67
	v_add_f32_e32 v63, v90, v63
	v_add_f32_e32 v72, v72, v82
	;; [unrolled: 1-line block ×4, first 2 shown]
	v_fmamk_f32 v69, v56, 0xbf59a7d5, v77
	v_fma_f32 v71, 0xbf59a7d5, v56, -v77
	v_add_f32_e32 v67, v76, v67
	v_mul_f32_e32 v76, 0x3f4c4adb, v55
	v_mul_f32_e32 v55, 0x3f2c7751, v55
	v_sub_f32_e32 v51, v51, v53
	v_add_f32_e32 v63, v63, v80
	v_add_f32_e32 v69, v72, v69
	;; [unrolled: 1-line block ×3, first 2 shown]
	v_fmamk_f32 v53, v56, 0xbf1a4643, v76
	v_fma_f32 v71, 0xbf1a4643, v56, -v76
	v_fmamk_f32 v72, v56, 0x3f3d2fb0, v55
	v_add_f32_e32 v52, v54, v52
	v_mul_f32_e32 v54, 0xbf763a35, v51
	v_fma_f32 v55, 0x3f3d2fb0, v56, -v55
	v_add_f32_e32 v53, v63, v53
	v_add_f32_e32 v56, v57, v71
	;; [unrolled: 1-line block ×3, first 2 shown]
	v_fmamk_f32 v60, v52, 0xbe8c1d8e, v54
	v_mul_f32_e32 v63, 0x3f06c442, v51
	v_add_f32_e32 v16, v16, v55
	v_fma_f32 v54, 0xbe8c1d8e, v52, -v54
	v_mul_f32_e32 v55, 0x3f2c7751, v51
	v_add_f32_e32 v60, v61, v60
	v_fmamk_f32 v61, v52, 0xbf59a7d5, v63
	v_mul_f32_e32 v71, 0xbf65296c, v51
	v_add_f32_e32 v54, v58, v54
	v_fmamk_f32 v58, v52, 0x3f3d2fb0, v55
	v_fma_f32 v55, 0x3f3d2fb0, v52, -v55
	v_fma_f32 v63, 0xbf59a7d5, v52, -v63
	v_add_f32_e32 v61, v68, v61
	v_fma_f32 v68, 0x3ee437d1, v52, -v71
	v_add_f32_e32 v58, v64, v58
	v_add_f32_e32 v55, v59, v55
	v_mul_f32_e32 v59, 0x3f7ee86f, v51
	v_add_f32_e32 v62, v62, v63
	v_fmamk_f32 v63, v52, 0x3ee437d1, v71
	v_mul_f32_e32 v64, 0xbe3c28d5, v51
	v_add_f32_e32 v65, v65, v68
	v_fmamk_f32 v68, v52, 0x3dbcf732, v59
	v_mul_f32_e32 v71, 0xbeb8f4ab, v51
	v_fma_f32 v59, 0x3dbcf732, v52, -v59
	v_mul_f32_e32 v51, 0xbf4c4adb, v51
	v_sub_f32_e32 v47, v47, v49
	v_add_f32_e32 v1, v1, v63
	v_fmamk_f32 v63, v52, 0xbf7ba420, v64
	v_fma_f32 v64, 0xbf7ba420, v52, -v64
	v_add_f32_e32 v59, v66, v59
	v_fma_f32 v49, 0x3f6eb680, v52, -v71
	v_fmamk_f32 v66, v52, 0xbf1a4643, v51
	v_add_f32_e32 v48, v50, v48
	v_mul_f32_e32 v50, 0xbf4c4adb, v47
	v_fma_f32 v51, 0xbf1a4643, v52, -v51
	v_add_f32_e32 v64, v67, v64
	v_add_f32_e32 v67, v69, v68
	v_fmamk_f32 v68, v52, 0x3f6eb680, v71
	v_add_f32_e32 v49, v56, v49
	v_add_f32_e32 v52, v57, v66
	v_mul_f32_e32 v56, 0x3f763a35, v47
	v_fmamk_f32 v57, v48, 0xbf1a4643, v50
	v_fma_f32 v50, 0xbf1a4643, v48, -v50
	v_add_f32_e32 v16, v16, v51
	v_mul_f32_e32 v51, 0xbeb8f4ab, v47
	v_fmamk_f32 v66, v48, 0xbe8c1d8e, v56
	v_add_f32_e32 v57, v60, v57
	v_add_f32_e32 v50, v54, v50
	v_fma_f32 v54, 0xbe8c1d8e, v48, -v56
	v_fmamk_f32 v56, v48, 0x3f6eb680, v51
	v_add_f32_e32 v60, v61, v66
	v_mul_f32_e32 v61, 0xbf06c442, v47
	v_fma_f32 v51, 0x3f6eb680, v48, -v51
	v_add_f32_e32 v54, v62, v54
	v_add_f32_e32 v56, v58, v56
	v_mul_f32_e32 v58, 0x3f7ee86f, v47
	v_fmamk_f32 v62, v48, 0xbf59a7d5, v61
	v_add_f32_e32 v51, v55, v51
	v_fma_f32 v55, 0xbf59a7d5, v48, -v61
	v_mul_f32_e32 v61, 0xbf2c7751, v47
	v_fmamk_f32 v66, v48, 0x3dbcf732, v58
	v_fma_f32 v58, 0x3dbcf732, v48, -v58
	v_add_f32_e32 v1, v1, v62
	v_sub_f32_e32 v43, v43, v45
	v_fmamk_f32 v62, v48, 0x3f3d2fb0, v61
	v_fma_f32 v61, 0x3f3d2fb0, v48, -v61
	v_add_f32_e32 v58, v64, v58
	v_mul_f32_e32 v64, 0xbe3c28d5, v47
	v_mul_f32_e32 v47, 0x3f65296c, v47
	v_add_f32_e32 v53, v53, v68
	v_add_f32_e32 v59, v59, v61
	;; [unrolled: 1-line block ×3, first 2 shown]
	v_fmamk_f32 v45, v48, 0xbf7ba420, v64
	v_fma_f32 v61, 0xbf7ba420, v48, -v64
	v_fmamk_f32 v64, v48, 0x3ee437d1, v47
	v_mul_f32_e32 v46, 0xbf06c442, v43
	v_fma_f32 v47, 0x3ee437d1, v48, -v47
	v_add_f32_e32 v45, v53, v45
	v_add_f32_e32 v48, v49, v61
	;; [unrolled: 1-line block ×3, first 2 shown]
	v_fmamk_f32 v52, v44, 0xbf59a7d5, v46
	v_mul_f32_e32 v53, 0x3f65296c, v43
	v_add_f32_e32 v16, v16, v47
	v_fma_f32 v46, 0xbf59a7d5, v44, -v46
	v_mul_f32_e32 v47, 0xbf7ee86f, v43
	v_add_f32_e32 v81, v88, v81
	v_add_f32_e32 v52, v57, v52
	v_fmamk_f32 v57, v44, 0x3ee437d1, v53
	v_fma_f32 v53, 0x3ee437d1, v44, -v53
	v_add_f32_e32 v46, v50, v46
	v_fmamk_f32 v50, v44, 0x3dbcf732, v47
	v_mul_f32_e32 v61, 0x3f4c4adb, v43
	v_fma_f32 v47, 0x3dbcf732, v44, -v47
	v_add_f32_e32 v70, v81, v70
	v_add_f32_e32 v55, v65, v55
	;; [unrolled: 1-line block ×5, first 2 shown]
	v_fmamk_f32 v54, v44, 0xbf1a4643, v61
	v_mul_f32_e32 v56, 0xbeb8f4ab, v43
	v_fma_f32 v60, 0xbf1a4643, v44, -v61
	v_add_f32_e32 v47, v51, v47
	v_mul_f32_e32 v51, 0xbe3c28d5, v43
	v_mul_f32_e32 v61, 0x3f2c7751, v43
	v_add_f32_e32 v70, v70, v78
	v_add_f32_e32 v62, v67, v62
	;; [unrolled: 1-line block ×3, first 2 shown]
	v_fmamk_f32 v54, v44, 0x3f6eb680, v56
	v_add_f32_e32 v55, v55, v60
	v_fma_f32 v56, 0x3f6eb680, v44, -v56
	v_fmamk_f32 v60, v44, 0xbf7ba420, v51
	v_mul_f32_e32 v43, 0xbf763a35, v43
	v_sub_f32_e32 v39, v39, v41
	v_fma_f32 v41, 0x3f3d2fb0, v44, -v61
	v_add_f32_e32 v63, v70, v63
	v_add_f32_e32 v56, v58, v56
	;; [unrolled: 1-line block ×3, first 2 shown]
	v_fmamk_f32 v60, v44, 0x3f3d2fb0, v61
	v_add_f32_e32 v69, v42, v40
	v_mul_f32_e32 v40, 0xbe3c28d5, v39
	v_add_f32_e32 v70, v48, v41
	v_fma_f32 v41, 0xbe8c1d8e, v44, -v43
	v_mul_f32_e32 v42, 0x3eb8f4ab, v39
	v_add_f32_e32 v68, v45, v60
	v_fmamk_f32 v45, v44, 0xbe8c1d8e, v43
	v_fmamk_f32 v43, v69, 0xbf7ba420, v40
	v_fma_f32 v40, 0xbf7ba420, v69, -v40
	v_add_f32_e32 v72, v16, v41
	v_mul_f32_e32 v16, 0xbf06c442, v39
	v_fmamk_f32 v41, v69, 0x3f6eb680, v42
	v_add_f32_e32 v63, v63, v66
	v_add_f32_e32 v77, v46, v40
	v_fma_f32 v40, 0x3f6eb680, v69, -v42
	v_fmamk_f32 v42, v69, 0xbf59a7d5, v16
	v_add_f32_e32 v78, v57, v41
	v_mul_f32_e32 v41, 0x3f2c7751, v39
	v_fma_f32 v16, 0xbf59a7d5, v69, -v16
	v_add_f32_e32 v80, v53, v40
	v_add_f32_e32 v81, v50, v42
	v_mul_f32_e32 v40, 0xbf4c4adb, v39
	v_fmamk_f32 v42, v69, 0x3f3d2fb0, v41
	v_add_f32_e32 v82, v47, v16
	v_fma_f32 v16, 0x3f3d2fb0, v69, -v41
	v_add_f32_e32 v54, v63, v54
	v_add_f32_e32 v76, v52, v43
	v_mul_f32_e32 v43, 0x3f65296c, v39
	v_fmamk_f32 v41, v69, 0xbf1a4643, v40
	v_add_f32_e32 v84, v55, v16
	v_lshlrev_b32_e32 v16, 2, v0
	v_add_f32_e32 v83, v1, v42
	v_fma_f32 v1, 0xbf1a4643, v69, -v40
	v_fma_f32 v51, 0xbf7ba420, v44, -v51
	v_fmamk_f32 v40, v69, 0x3ee437d1, v43
	v_add3_u32 v63, 0, v16, v25
	v_add_f32_e32 v85, v54, v41
	v_mul_f32_e32 v41, 0xbf763a35, v39
	v_add_f32_e32 v86, v56, v1
	v_add3_u32 v1, 0, v25, v16
	v_add_nc_u32_e32 v65, 0x200, v63
	v_add_nc_u32_e32 v64, 0x400, v63
	v_add_f32_e32 v67, v59, v51
	v_add_f32_e32 v71, v49, v45
	;; [unrolled: 1-line block ×3, first 2 shown]
	v_fma_f32 v88, 0x3ee437d1, v69, -v43
	v_fmamk_f32 v89, v69, 0xbe8c1d8e, v41
	v_fma_f32 v90, 0xbe8c1d8e, v69, -v41
	v_mul_f32_e32 v91, 0x3f7ee86f, v39
	s_waitcnt lgkmcnt(0)
	s_barrier
	buffer_gl0_inv
	ds_read_b32 v66, v1
	ds_read2_b32 v[61:62], v63 offset0:85 offset1:102
	ds_read2_b32 v[45:46], v63 offset0:153 offset1:170
	ds_read2_b32 v[59:60], v65 offset0:127 offset1:144
	ds_read2_b32 v[43:44], v64 offset0:67 offset1:84
	ds_read2_b32 v[41:42], v63 offset0:17 offset1:34
	ds_read2_b32 v[57:58], v63 offset0:187 offset1:204
	ds_read2_b32 v[55:56], v64 offset0:101 offset1:118
	ds_read2_b32 v[53:54], v63 offset0:119 offset1:136
	ds_read2_b32 v[51:52], v64 offset0:33 offset1:50
	ds_read2_b32 v[39:40], v63 offset0:51 offset1:68
	ds_read2_b32 v[49:50], v63 offset0:221 offset1:238
	ds_read2_b32 v[47:48], v64 offset0:135 offset1:152
	v_fmamk_f32 v92, v69, 0x3dbcf732, v91
	v_fma_f32 v69, 0x3dbcf732, v69, -v91
	v_add_f32_e32 v68, v68, v89
	v_add_f32_e32 v67, v67, v88
	;; [unrolled: 1-line block ×5, first 2 shown]
	s_waitcnt lgkmcnt(0)
	s_barrier
	buffer_gl0_inv
	ds_write2_b32 v75, v79, v76 offset1:1
	ds_write2_b32 v75, v78, v81 offset0:2 offset1:3
	ds_write2_b32 v75, v83, v85 offset0:4 offset1:5
	;; [unrolled: 1-line block ×7, first 2 shown]
	ds_write_b32 v75, v77 offset:64
	s_and_saveexec_b32 s1, s0
	s_cbranch_execz .LBB0_16
; %bb.15:
	v_add_f32_e32 v67, v26, v38
	v_sub_f32_e32 v31, v35, v31
	v_sub_f32_e32 v33, v37, v33
	v_add_f32_e32 v37, v38, v34
	v_add_f32_e32 v38, v36, v32
	;; [unrolled: 1-line block ×3, first 2 shown]
	v_mul_f32_e32 v75, 0xbf2c7751, v31
	v_mul_f32_e32 v36, 0xbeb8f4ab, v33
	;; [unrolled: 1-line block ×4, first 2 shown]
	v_add_f32_e32 v35, v35, v28
	v_mul_f32_e32 v69, 0xbf7ee86f, v33
	v_mul_f32_e32 v70, 0xbf763a35, v33
	;; [unrolled: 1-line block ×4, first 2 shown]
	v_add_f32_e32 v35, v35, v22
	v_mul_f32_e32 v33, 0xbe3c28d5, v33
	v_mul_f32_e32 v76, 0xbf7ee86f, v31
	v_fmamk_f32 v79, v37, 0x3f6eb680, v36
	v_fma_f32 v36, 0x3f6eb680, v37, -v36
	v_add_f32_e32 v35, v35, v18
	v_fmamk_f32 v80, v37, 0x3f3d2fb0, v67
	v_fma_f32 v67, 0x3f3d2fb0, v37, -v67
	v_mul_f32_e32 v78, 0xbe3c28d5, v31
	v_fmamk_f32 v81, v37, 0x3ee437d1, v68
	v_add_f32_e32 v35, v35, v13
	v_fma_f32 v68, 0x3ee437d1, v37, -v68
	v_fmamk_f32 v82, v37, 0x3dbcf732, v69
	v_fma_f32 v69, 0x3dbcf732, v37, -v69
	v_fmamk_f32 v83, v37, 0xbe8c1d8e, v70
	v_add_f32_e32 v35, v35, v9
	v_fma_f32 v70, 0xbe8c1d8e, v37, -v70
	v_fmamk_f32 v84, v37, 0xbf1a4643, v71
	v_fma_f32 v71, 0xbf1a4643, v37, -v71
	;; [unrolled: 5-line block ×4, first 2 shown]
	v_add_f32_e32 v79, v26, v79
	v_add_f32_e32 v35, v11, v35
	;; [unrolled: 1-line block ×23, first 2 shown]
	v_mul_f32_e32 v76, 0x3f763a35, v31
	v_mul_f32_e32 v77, 0xbf4c4adb, v31
	;; [unrolled: 1-line block ×3, first 2 shown]
	v_add_f32_e32 v32, v32, v35
	v_add_f32_e32 v35, v36, v75
	v_fma_f32 v75, 0xbf7ba420, v38, -v78
	v_sub_f32_e32 v27, v27, v29
	v_fmamk_f32 v89, v38, 0xbf7ba420, v78
	v_add_f32_e32 v32, v34, v32
	v_mul_f32_e32 v34, 0x3f06c442, v31
	v_add_f32_e32 v69, v69, v75
	v_fmamk_f32 v75, v38, 0xbe8c1d8e, v76
	v_fma_f32 v76, 0xbe8c1d8e, v38, -v76
	v_mul_f32_e32 v31, 0x3eb8f4ab, v31
	v_fmamk_f32 v78, v38, 0xbf59a7d5, v34
	v_fma_f32 v34, 0xbf59a7d5, v38, -v34
	v_fma_f32 v29, 0x3ee437d1, v38, -v79
	v_add_f32_e32 v71, v71, v76
	v_fmamk_f32 v76, v38, 0x3f6eb680, v31
	v_add_f32_e32 v28, v28, v30
	v_mul_f32_e32 v30, 0xbf65296c, v27
	v_fma_f32 v31, 0x3f6eb680, v38, -v31
	v_fmamk_f32 v88, v38, 0xbf1a4643, v77
	v_fma_f32 v77, 0xbf1a4643, v38, -v77
	v_add_f32_e32 v34, v70, v34
	v_add_f32_e32 v70, v84, v75
	v_fmamk_f32 v75, v38, 0x3ee437d1, v79
	v_add_f32_e32 v29, v72, v29
	v_add_f32_e32 v38, v86, v76
	v_mul_f32_e32 v72, 0xbf4c4adb, v27
	v_fmamk_f32 v76, v28, 0x3ee437d1, v30
	v_fma_f32 v30, 0x3ee437d1, v28, -v30
	v_add_f32_e32 v26, v26, v31
	v_mul_f32_e32 v31, 0x3e3c28d5, v27
	v_add_f32_e32 v67, v81, v88
	v_fmamk_f32 v79, v28, 0xbf1a4643, v72
	v_add_f32_e32 v30, v35, v30
	v_fma_f32 v35, 0xbf1a4643, v28, -v72
	v_fmamk_f32 v72, v28, 0xbf7ba420, v31
	v_add_f32_e32 v36, v80, v87
	v_add_f32_e32 v68, v68, v77
	;; [unrolled: 1-line block ×3, first 2 shown]
	v_mul_f32_e32 v76, 0x3f763a35, v27
	v_fma_f32 v31, 0xbf7ba420, v28, -v31
	v_add_f32_e32 v35, v37, v35
	v_add_f32_e32 v37, v67, v72
	v_mul_f32_e32 v67, 0x3f2c7751, v27
	v_add_f32_e32 v36, v36, v79
	v_fmamk_f32 v72, v28, 0xbe8c1d8e, v76
	v_add_f32_e32 v31, v68, v31
	v_fma_f32 v68, 0xbe8c1d8e, v28, -v76
	v_mul_f32_e32 v76, 0xbeb8f4ab, v27
	v_fmamk_f32 v79, v28, 0x3f3d2fb0, v67
	v_fma_f32 v67, 0x3f3d2fb0, v28, -v67
	v_sub_f32_e32 v21, v21, v23
	v_add_f32_e32 v68, v69, v68
	v_fmamk_f32 v69, v28, 0x3f6eb680, v76
	v_fma_f32 v76, 0x3f6eb680, v28, -v76
	v_add_f32_e32 v34, v34, v67
	v_mul_f32_e32 v67, 0xbf7ee86f, v27
	v_mul_f32_e32 v27, 0xbf06c442, v27
	v_add_f32_e32 v69, v70, v69
	v_add_f32_e32 v70, v71, v76
	;; [unrolled: 1-line block ×3, first 2 shown]
	v_fmamk_f32 v23, v28, 0x3dbcf732, v67
	v_fma_f32 v67, 0x3dbcf732, v28, -v67
	v_fmamk_f32 v71, v28, 0xbf59a7d5, v27
	v_mul_f32_e32 v24, 0xbf7ee86f, v21
	v_fma_f32 v27, 0xbf59a7d5, v28, -v27
	v_add_f32_e32 v77, v82, v89
	v_add_f32_e32 v28, v29, v67
	;; [unrolled: 1-line block ×3, first 2 shown]
	v_fmamk_f32 v38, v22, 0x3dbcf732, v24
	v_mul_f32_e32 v67, 0xbe3c28d5, v21
	v_add_f32_e32 v26, v26, v27
	v_fma_f32 v24, 0x3dbcf732, v22, -v24
	v_mul_f32_e32 v27, 0x3f763a35, v21
	v_add_f32_e32 v33, v33, v38
	v_fmamk_f32 v38, v22, 0xbf7ba420, v67
	v_fma_f32 v67, 0xbf7ba420, v22, -v67
	v_add_f32_e32 v24, v30, v24
	v_fmamk_f32 v30, v22, 0xbe8c1d8e, v27
	v_mul_f32_e32 v71, 0x3eb8f4ab, v21
	v_fma_f32 v27, 0xbe8c1d8e, v22, -v27
	v_add_f32_e32 v72, v77, v72
	v_add_f32_e32 v36, v36, v38
	;; [unrolled: 1-line block ×4, first 2 shown]
	v_fmamk_f32 v37, v22, 0x3f6eb680, v71
	v_mul_f32_e32 v38, 0xbf65296c, v21
	v_fma_f32 v67, 0x3f6eb680, v22, -v71
	v_add_f32_e32 v27, v31, v27
	v_mul_f32_e32 v31, 0xbf06c442, v21
	v_add_f32_e32 v75, v85, v75
	v_add_f32_e32 v37, v72, v37
	v_fmamk_f32 v71, v22, 0x3ee437d1, v38
	v_add_f32_e32 v67, v68, v67
	v_fma_f32 v38, 0x3ee437d1, v22, -v38
	v_fmamk_f32 v68, v22, 0xbf59a7d5, v31
	v_mul_f32_e32 v72, 0x3f4c4adb, v21
	v_add_f32_e32 v23, v75, v23
	v_mul_f32_e32 v21, 0x3f2c7751, v21
	v_add_f32_e32 v34, v34, v38
	v_add_f32_e32 v38, v69, v68
	v_fmamk_f32 v68, v22, 0xbf1a4643, v72
	v_sub_f32_e32 v17, v17, v19
	v_fma_f32 v19, 0xbf1a4643, v22, -v72
	v_add_f32_e32 v18, v18, v20
	v_fma_f32 v31, 0xbf59a7d5, v22, -v31
	v_add_f32_e32 v23, v23, v68
	v_fmamk_f32 v68, v22, 0x3f3d2fb0, v21
	v_mul_f32_e32 v20, 0xbf763a35, v17
	v_fma_f32 v21, 0x3f3d2fb0, v22, -v21
	v_add_f32_e32 v19, v28, v19
	v_mul_f32_e32 v28, 0x3f06c442, v17
	v_add_f32_e32 v22, v29, v68
	v_fmamk_f32 v29, v18, 0xbe8c1d8e, v20
	v_fma_f32 v20, 0xbe8c1d8e, v18, -v20
	v_add_f32_e32 v21, v26, v21
	v_mul_f32_e32 v26, 0x3f2c7751, v17
	v_fmamk_f32 v68, v18, 0xbf59a7d5, v28
	v_add_f32_e32 v29, v33, v29
	v_add_f32_e32 v20, v24, v20
	v_fma_f32 v24, 0xbf59a7d5, v18, -v28
	v_fmamk_f32 v28, v18, 0x3f3d2fb0, v26
	v_add_f32_e32 v33, v36, v68
	v_mul_f32_e32 v36, 0xbf65296c, v17
	v_fma_f32 v26, 0x3f3d2fb0, v18, -v26
	v_add_f32_e32 v24, v35, v24
	v_add_f32_e32 v28, v30, v28
	v_mul_f32_e32 v30, 0xbe3c28d5, v17
	v_fmamk_f32 v35, v18, 0x3ee437d1, v36
	v_add_f32_e32 v26, v27, v26
	v_fma_f32 v27, 0x3ee437d1, v18, -v36
	v_mul_f32_e32 v36, 0x3f7ee86f, v17
	v_fmamk_f32 v68, v18, 0xbf7ba420, v30
	v_fma_f32 v30, 0xbf7ba420, v18, -v30
	v_add_f32_e32 v31, v70, v31
	v_add_f32_e32 v35, v37, v35
	v_fmamk_f32 v37, v18, 0x3dbcf732, v36
	v_fma_f32 v36, 0x3dbcf732, v18, -v36
	v_add_f32_e32 v30, v34, v30
	v_mul_f32_e32 v34, 0xbeb8f4ab, v17
	v_mul_f32_e32 v17, 0xbf4c4adb, v17
	v_sub_f32_e32 v12, v12, v14
	v_add_f32_e32 v31, v31, v36
	v_add_f32_e32 v13, v13, v15
	v_fmamk_f32 v14, v18, 0x3f6eb680, v34
	v_fmamk_f32 v36, v18, 0xbf1a4643, v17
	v_mul_f32_e32 v15, 0xbf4c4adb, v12
	v_fma_f32 v17, 0xbf1a4643, v18, -v17
	v_fma_f32 v34, 0x3f6eb680, v18, -v34
	v_add_f32_e32 v14, v23, v14
	v_add_f32_e32 v18, v22, v36
	v_fmamk_f32 v22, v13, 0xbf1a4643, v15
	v_mul_f32_e32 v23, 0x3f763a35, v12
	v_fma_f32 v15, 0xbf1a4643, v13, -v15
	v_add_f32_e32 v17, v21, v17
	v_mul_f32_e32 v21, 0xbeb8f4ab, v12
	v_add_f32_e32 v22, v29, v22
	v_fmamk_f32 v29, v13, 0xbe8c1d8e, v23
	v_add_f32_e32 v15, v20, v15
	v_fma_f32 v20, 0xbe8c1d8e, v13, -v23
	v_fmamk_f32 v23, v13, 0x3f6eb680, v21
	v_add_f32_e32 v19, v19, v34
	v_mul_f32_e32 v34, 0xbf06c442, v12
	v_fma_f32 v21, 0x3f6eb680, v13, -v21
	v_add_f32_e32 v20, v24, v20
	v_add_f32_e32 v23, v28, v23
	v_mul_f32_e32 v28, 0x3f7ee86f, v12
	v_fmamk_f32 v24, v13, 0xbf59a7d5, v34
	v_add_f32_e32 v21, v26, v21
	v_fma_f32 v26, 0xbf59a7d5, v13, -v34
	v_add_f32_e32 v27, v67, v27
	v_fmamk_f32 v34, v13, 0x3dbcf732, v28
	v_fma_f32 v28, 0x3dbcf732, v13, -v28
	v_add_f32_e32 v29, v33, v29
	v_mul_f32_e32 v33, 0xbf2c7751, v12
	v_sub_f32_e32 v8, v8, v10
	v_add_f32_e32 v26, v27, v26
	v_add_f32_e32 v28, v30, v28
	v_mul_f32_e32 v30, 0xbe3c28d5, v12
	v_fmamk_f32 v27, v13, 0x3f3d2fb0, v33
	v_fma_f32 v33, 0x3f3d2fb0, v13, -v33
	v_mul_f32_e32 v10, 0x3f65296c, v12
	v_add_f32_e32 v9, v9, v11
	v_fmamk_f32 v12, v13, 0xbf7ba420, v30
	v_fma_f32 v30, 0xbf7ba420, v13, -v30
	v_mul_f32_e32 v11, 0xbf06c442, v8
	v_add_f32_e32 v31, v31, v33
	v_fmamk_f32 v33, v13, 0x3ee437d1, v10
	v_add_f32_e32 v12, v14, v12
	v_fma_f32 v10, 0x3ee437d1, v13, -v10
	v_add_f32_e32 v13, v19, v30
	v_fmamk_f32 v14, v9, 0xbf59a7d5, v11
	v_mul_f32_e32 v19, 0x3f65296c, v8
	v_fma_f32 v11, 0xbf59a7d5, v9, -v11
	v_add_f32_e32 v24, v35, v24
	v_add_f32_e32 v10, v17, v10
	;; [unrolled: 1-line block ×3, first 2 shown]
	v_fmamk_f32 v22, v9, 0x3ee437d1, v19
	v_fma_f32 v19, 0x3ee437d1, v9, -v19
	v_add_f32_e32 v11, v15, v11
	v_mul_f32_e32 v15, 0x3f4c4adb, v8
	v_mul_f32_e32 v17, 0xbf7ee86f, v8
	v_add_f32_e32 v22, v29, v22
	v_add_f32_e32 v19, v20, v19
	v_mul_f32_e32 v29, 0xbeb8f4ab, v8
	v_fmamk_f32 v20, v9, 0xbf1a4643, v15
	v_fma_f32 v15, 0xbf1a4643, v9, -v15
	v_add_f32_e32 v78, v83, v78
	v_fmamk_f32 v30, v9, 0x3dbcf732, v17
	v_fma_f32 v17, 0x3dbcf732, v9, -v17
	v_add_f32_e32 v20, v24, v20
	v_fmamk_f32 v24, v9, 0x3f6eb680, v29
	v_add_f32_e32 v15, v26, v15
	v_fma_f32 v26, 0x3f6eb680, v9, -v29
	v_mul_f32_e32 v29, 0x3f2c7751, v8
	v_add_f32_e32 v77, v78, v79
	v_add_f32_e32 v17, v21, v17
	v_mul_f32_e32 v21, 0xbe3c28d5, v8
	v_add_f32_e32 v26, v28, v26
	v_fmamk_f32 v28, v9, 0x3f3d2fb0, v29
	v_mul_f32_e32 v8, 0xbf763a35, v8
	v_sub_f32_e32 v4, v4, v6
	v_add_f32_e32 v71, v77, v71
	v_add_f32_e32 v18, v18, v33
	;; [unrolled: 1-line block ×3, first 2 shown]
	v_fma_f32 v12, 0x3f3d2fb0, v9, -v29
	v_add_f32_e32 v23, v23, v30
	v_fmamk_f32 v30, v9, 0xbf7ba420, v21
	v_fma_f32 v21, 0xbf7ba420, v9, -v21
	v_fmamk_f32 v28, v9, 0xbe8c1d8e, v8
	v_add_f32_e32 v5, v5, v7
	v_mul_f32_e32 v7, 0xbe3c28d5, v4
	v_fma_f32 v8, 0xbe8c1d8e, v9, -v8
	v_add_f32_e32 v9, v13, v12
	v_mul_f32_e32 v12, 0x3eb8f4ab, v4
	v_add_f32_e32 v67, v71, v68
	v_add_f32_e32 v13, v18, v28
	v_fmamk_f32 v18, v5, 0xbf7ba420, v7
	v_add_f32_e32 v8, v10, v8
	v_fma_f32 v7, 0xbf7ba420, v5, -v7
	v_fmamk_f32 v10, v5, 0x3f6eb680, v12
	v_mul_f32_e32 v28, 0xbf06c442, v4
	v_fma_f32 v12, 0x3f6eb680, v5, -v12
	v_add_f32_e32 v34, v67, v34
	v_add_f32_e32 v14, v14, v18
	;; [unrolled: 1-line block ×4, first 2 shown]
	v_fmamk_f32 v11, v5, 0xbf59a7d5, v28
	v_mul_f32_e32 v18, 0x3f2c7751, v4
	v_add_f32_e32 v12, v19, v12
	v_fma_f32 v19, 0xbf59a7d5, v5, -v28
	v_mul_f32_e32 v22, 0xbf4c4adb, v4
	v_add_f32_e32 v37, v38, v37
	v_add_f32_e32 v24, v34, v24
	;; [unrolled: 1-line block ×3, first 2 shown]
	v_fmamk_f32 v23, v5, 0x3f3d2fb0, v18
	v_add_f32_e32 v17, v17, v19
	v_fmamk_f32 v19, v5, 0xbf1a4643, v22
	v_mul_f32_e32 v28, 0x3f65296c, v4
	v_fma_f32 v18, 0x3f3d2fb0, v5, -v18
	v_add_f32_e32 v27, v37, v27
	v_add_f32_e32 v21, v31, v21
	;; [unrolled: 1-line block ×4, first 2 shown]
	v_fma_f32 v23, 0x3ee437d1, v5, -v28
	v_mul_f32_e32 v24, 0xbf763a35, v4
	v_add_f32_e32 v15, v15, v18
	v_fma_f32 v18, 0xbf1a4643, v5, -v22
	v_mul_f32_e32 v4, 0x3f7ee86f, v4
	v_add_f32_e32 v27, v27, v30
	v_fmamk_f32 v22, v5, 0x3ee437d1, v28
	v_add_f32_e32 v21, v21, v23
	v_fmamk_f32 v23, v5, 0xbe8c1d8e, v24
	;; [unrolled: 2-line block ×3, first 2 shown]
	v_fma_f32 v4, 0x3dbcf732, v5, -v4
	v_fma_f32 v24, 0xbe8c1d8e, v5, -v24
	v_add3_u32 v5, 0, v74, v25
	v_add_f32_e32 v22, v27, v22
	v_add_f32_e32 v6, v6, v23
	;; [unrolled: 1-line block ×5, first 2 shown]
	ds_write2_b32 v5, v32, v14 offset1:1
	ds_write2_b32 v5, v10, v11 offset0:2 offset1:3
	ds_write2_b32 v5, v20, v19 offset0:4 offset1:5
	;; [unrolled: 1-line block ×7, first 2 shown]
	ds_write_b32 v5, v7 offset:64
.LBB0_16:
	s_or_b32 exec_lo, exec_lo, s1
	v_mov_b32_e32 v17, 0
	v_add_nc_u32_e32 v36, 34, v0
	v_add_nc_u32_e32 v35, 51, v0
	;; [unrolled: 1-line block ×3, first 2 shown]
	s_waitcnt lgkmcnt(0)
	v_lshlrev_b64 v[4:5], 3, v[16:17]
	v_and_b32_e32 v6, 0xff, v36
	v_and_b32_e32 v7, 0xff, v35
	;; [unrolled: 1-line block ×3, first 2 shown]
	s_barrier
	buffer_gl0_inv
	v_add_co_u32 v4, s0, s8, v4
	v_add_co_ci_u32_e64 v5, s0, s9, v5, s0
	v_mul_lo_u16 v6, 0xf1, v6
	v_mul_lo_u16 v7, 0xf1, v7
	;; [unrolled: 1-line block ×3, first 2 shown]
	s_clause 0x1
	global_load_dwordx4 v[9:12], v[4:5], off
	global_load_dwordx4 v[20:23], v[4:5], off offset:16
	v_mov_b32_e32 v8, 5
	v_lshrrev_b16 v6, 12, v6
	v_lshrrev_b16 v7, 12, v7
	v_lshrrev_b16 v13, 12, v13
	v_mov_b32_e32 v38, 2
	v_mul_lo_u16 v6, v6, 17
	v_mul_lo_u16 v7, v7, 17
	;; [unrolled: 1-line block ×3, first 2 shown]
	v_sub_nc_u16 v6, v36, v6
	v_sub_nc_u16 v7, v35, v7
	v_sub_nc_u16 v24, v34, v13
	v_lshlrev_b32_sdwa v14, v8, v6 dst_sel:DWORD dst_unused:UNUSED_PAD src0_sel:DWORD src1_sel:BYTE_0
	v_lshlrev_b32_sdwa v15, v8, v7 dst_sel:DWORD dst_unused:UNUSED_PAD src0_sel:DWORD src1_sel:BYTE_0
	;; [unrolled: 1-line block ×4, first 2 shown]
	s_clause 0x5
	global_load_dwordx4 v[26:29], v14, s[8:9]
	global_load_dwordx4 v[30:33], v14, s[8:9] offset:16
	global_load_dwordx4 v[67:70], v15, s[8:9]
	global_load_dwordx4 v[74:77], v15, s[8:9] offset:16
	;; [unrolled: 2-line block ×3, first 2 shown]
	ds_read2_b32 v[13:14], v63 offset0:85 offset1:102
	ds_read2_b32 v[71:72], v63 offset0:153 offset1:170
	ds_read2_b32 v[86:87], v65 offset0:127 offset1:144
	ds_read2_b32 v[88:89], v64 offset0:67 offset1:84
	ds_read_b32 v37, v1
	ds_read2_b32 v[15:16], v63 offset0:17 offset1:34
	ds_read2_b32 v[90:91], v63 offset0:187 offset1:204
	ds_read2_b32 v[92:93], v64 offset0:101 offset1:118
	ds_read2_b32 v[94:95], v63 offset0:119 offset1:136
	v_lshlrev_b32_sdwa v8, v38, v6 dst_sel:DWORD dst_unused:UNUSED_PAD src0_sel:DWORD src1_sel:BYTE_0
	v_lshlrev_b32_sdwa v6, v38, v24 dst_sel:DWORD dst_unused:UNUSED_PAD src0_sel:DWORD src1_sel:BYTE_0
	ds_read2_b32 v[96:97], v64 offset0:33 offset1:50
	ds_read2_b32 v[18:19], v63 offset0:51 offset1:68
	;; [unrolled: 1-line block ×4, first 2 shown]
	s_waitcnt vmcnt(0) lgkmcnt(0)
	s_barrier
	buffer_gl0_inv
	v_mul_f32_e32 v24, v13, v10
	v_mul_f32_e32 v38, v61, v10
	;; [unrolled: 1-line block ×16, first 2 shown]
	v_fma_f32 v24, v61, v9, -v24
	v_fmac_f32_e32 v38, v13, v9
	v_fma_f32 v13, v46, v11, -v102
	v_fmac_f32_e32 v103, v72, v11
	;; [unrolled: 2-line block ×7, first 2 shown]
	v_fmac_f32_e32 v23, v92, v22
	v_add_f32_e32 v20, v66, v24
	v_sub_f32_e32 v60, v24, v13
	v_sub_f32_e32 v61, v44, v46
	;; [unrolled: 1-line block ×4, first 2 shown]
	v_add_f32_e32 v87, v37, v38
	v_add_f32_e32 v89, v103, v105
	v_sub_f32_e32 v92, v38, v103
	v_sub_f32_e32 v102, v107, v105
	v_fma_f32 v14, v55, v22, -v111
	v_add_f32_e32 v22, v13, v46
	v_sub_f32_e32 v55, v38, v107
	v_sub_f32_e32 v57, v103, v105
	;; [unrolled: 1-line block ×3, first 2 shown]
	v_add_f32_e32 v104, v38, v107
	v_sub_f32_e32 v106, v103, v38
	v_sub_f32_e32 v111, v10, v23
	v_add_f32_e32 v13, v20, v13
	v_add_f32_e32 v20, v15, v10
	;; [unrolled: 1-line block ×5, first 2 shown]
	v_sub_f32_e32 v86, v10, v12
	v_add_f32_e32 v87, v87, v103
	v_sub_f32_e32 v103, v23, v21
	v_add_f32_e32 v92, v92, v102
	v_add_f32_e32 v102, v10, v23
	v_sub_f32_e32 v10, v12, v10
	v_fma_f32 v38, -0.5, v89, v37
	v_sub_f32_e32 v89, v21, v23
	v_add_f32_e32 v62, v24, v44
	v_add_f32_e32 v109, v41, v59
	v_sub_f32_e32 v112, v12, v21
	v_add_f32_e32 v12, v20, v12
	v_fma_f32 v61, -0.5, v61, v15
	v_add_f32_e32 v20, v86, v103
	v_fma_f32 v86, -0.5, v102, v15
	v_add_f32_e32 v10, v10, v89
	v_mul_f32_e32 v15, v94, v27
	v_mul_f32_e32 v27, v53, v27
	;; [unrolled: 1-line block ×4, first 2 shown]
	v_add_f32_e32 v110, v9, v11
	v_sub_f32_e32 v113, v59, v9
	v_sub_f32_e32 v116, v9, v59
	v_fma_f32 v22, -0.5, v22, v66
	v_fmac_f32_e32 v66, -0.5, v62
	v_sub_f32_e32 v62, v9, v11
	v_add_f32_e32 v9, v109, v9
	v_mul_f32_e32 v102, v96, v31
	v_mul_f32_e32 v31, v51, v31
	;; [unrolled: 1-line block ×3, first 2 shown]
	v_fma_f32 v58, v58, v28, -v89
	v_mul_f32_e32 v33, v56, v33
	v_mul_f32_e32 v89, v95, v68
	v_fmac_f32_e32 v29, v91, v28
	v_mul_f32_e32 v28, v54, v68
	v_mul_f32_e32 v68, v98, v70
	v_fma_f32 v15, v53, v26, -v15
	v_fmac_f32_e32 v27, v94, v26
	v_mul_f32_e32 v26, v49, v70
	v_mul_f32_e32 v53, v97, v75
	;; [unrolled: 1-line block ×5, first 2 shown]
	v_sub_f32_e32 v108, v105, v107
	v_add_f32_e32 v115, v59, v14
	v_sub_f32_e32 v59, v59, v14
	v_fmac_f32_e32 v37, -0.5, v104
	v_fma_f32 v56, v56, v32, -v103
	v_mul_f32_e32 v91, v71, v79
	v_fmac_f32_e32 v33, v93, v32
	v_mul_f32_e32 v32, v45, v79
	v_mul_f32_e32 v79, v99, v81
	v_fma_f32 v51, v51, v30, -v102
	v_fmac_f32_e32 v31, v96, v30
	v_mul_f32_e32 v30, v50, v81
	v_mul_f32_e32 v81, v88, v83
	;; [unrolled: 1-line block ×3, first 2 shown]
	v_add_f32_e32 v9, v9, v11
	v_fmac_f32_e32 v28, v95, v67
	v_add_f32_e32 v12, v12, v21
	v_fma_f32 v21, v49, v69, -v68
	v_fmamk_f32 v49, v62, 0x3f737871, v86
	v_fmac_f32_e32 v86, 0xbf737871, v62
	v_fmac_f32_e32 v77, v100, v76
	v_sub_f32_e32 v24, v24, v44
	v_sub_f32_e32 v114, v14, v11
	;; [unrolled: 1-line block ×3, first 2 shown]
	v_add_f32_e32 v104, v106, v108
	v_fma_f32 v106, -0.5, v110, v41
	v_fma_f32 v41, -0.5, v115, v41
	v_mul_f32_e32 v83, v43, v83
	v_add_f32_e32 v13, v13, v46
	v_mul_f32_e32 v46, v48, v85
	v_fma_f32 v54, v54, v67, -v89
	v_fmamk_f32 v85, v55, 0x3f737871, v22
	v_fmac_f32_e32 v22, 0xbf737871, v55
	v_fmamk_f32 v89, v57, 0xbf737871, v66
	v_fmac_f32_e32 v66, 0x3f737871, v57
	v_add_f32_e32 v87, v87, v105
	v_fmamk_f32 v96, v90, 0x3f737871, v37
	v_fmac_f32_e32 v37, 0xbf737871, v90
	v_fmamk_f32 v95, v59, 0xbf737871, v61
	v_fmac_f32_e32 v61, 0x3f737871, v59
	v_fmac_f32_e32 v26, v98, v69
	v_fma_f32 v52, v52, v74, -v53
	v_fma_f32 v45, v45, v78, -v91
	;; [unrolled: 1-line block ×5, first 2 shown]
	v_add_f32_e32 v9, v9, v14
	v_add_f32_e32 v53, v12, v23
	v_fmac_f32_e32 v49, 0xbf167918, v59
	v_fmac_f32_e32 v86, 0x3f167918, v59
	v_add_f32_e32 v12, v42, v15
	v_add_f32_e32 v14, v58, v51
	;; [unrolled: 1-line block ×6, first 2 shown]
	v_fmamk_f32 v94, v24, 0xbf737871, v38
	v_fmac_f32_e32 v38, 0x3f737871, v24
	v_fmamk_f32 v67, v112, 0xbf737871, v41
	v_fmac_f32_e32 v41, 0x3f737871, v112
	v_fmac_f32_e32 v70, v97, v74
	v_fma_f32 v47, v47, v76, -v75
	v_fmac_f32_e32 v32, v71, v78
	v_fmac_f32_e32 v30, v99, v80
	;; [unrolled: 1-line block ×3, first 2 shown]
	v_add_f32_e32 v13, v13, v44
	v_fmac_f32_e32 v85, 0x3f167918, v57
	v_fmac_f32_e32 v22, 0xbf167918, v57
	;; [unrolled: 1-line block ×4, first 2 shown]
	v_add_f32_e32 v44, v87, v107
	v_fmac_f32_e32 v96, 0xbf167918, v24
	v_fmac_f32_e32 v37, 0x3f167918, v24
	v_sub_f32_e32 v23, v27, v33
	v_sub_f32_e32 v24, v29, v31
	;; [unrolled: 1-line block ×4, first 2 shown]
	v_add_f32_e32 v71, v29, v31
	v_sub_f32_e32 v75, v27, v29
	v_sub_f32_e32 v76, v33, v31
	v_add_f32_e32 v78, v27, v33
	v_sub_f32_e32 v27, v29, v27
	v_add_f32_e32 v80, v39, v54
	;; [unrolled: 2-line block ×3, first 2 shown]
	v_add_f32_e32 v114, v45, v48
	v_fmac_f32_e32 v49, 0x3e9e377a, v10
	v_fmac_f32_e32 v86, 0x3e9e377a, v10
	v_add_f32_e32 v10, v12, v58
	v_fma_f32 v12, -0.5, v14, v42
	v_fmac_f32_e32 v42, -0.5, v59
	v_add_f32_e32 v29, v69, v29
	v_fma_f32 v69, -0.5, v102, v18
	v_fmamk_f32 v11, v111, 0x3f737871, v106
	v_fmac_f32_e32 v106, 0xbf737871, v111
	v_fmac_f32_e32 v46, v101, v84
	;; [unrolled: 1-line block ×8, first 2 shown]
	v_sub_f32_e32 v62, v58, v15
	v_sub_f32_e32 v68, v51, v56
	v_sub_f32_e32 v74, v58, v51
	v_sub_f32_e32 v79, v31, v33
	v_add_f32_e32 v81, v21, v52
	v_sub_f32_e32 v82, v28, v77
	v_sub_f32_e32 v87, v54, v21
	;; [unrolled: 1-line block ×3, first 2 shown]
	v_add_f32_e32 v90, v54, v47
	v_sub_f32_e32 v91, v21, v54
	v_add_f32_e32 v97, v18, v28
	v_add_f32_e32 v98, v26, v70
	v_sub_f32_e32 v54, v54, v47
	v_sub_f32_e32 v100, v28, v26
	;; [unrolled: 1-line block ×4, first 2 shown]
	v_add_f32_e32 v105, v40, v45
	v_sub_f32_e32 v111, v30, v83
	v_add_f32_e32 v14, v55, v57
	v_fma_f32 v55, -0.5, v71, v16
	v_add_f32_e32 v57, v75, v76
	v_fmac_f32_e32 v16, -0.5, v78
	v_add_f32_e32 v21, v80, v21
	v_fma_f32 v71, -0.5, v107, v40
	v_fmac_f32_e32 v40, -0.5, v114
	v_add_f32_e32 v10, v10, v51
	v_fmamk_f32 v51, v23, 0x3f737871, v12
	v_fmac_f32_e32 v12, 0xbf737871, v23
	v_fmamk_f32 v76, v24, 0xbf737871, v42
	v_fmac_f32_e32 v42, 0x3f737871, v24
	;; [unrolled: 2-line block ×3, first 2 shown]
	v_add_f32_e32 v109, v116, v117
	v_sub_f32_e32 v15, v15, v56
	v_sub_f32_e32 v84, v26, v70
	;; [unrolled: 1-line block ×5, first 2 shown]
	v_add_f32_e32 v117, v19, v32
	v_add_f32_e32 v118, v30, v83
	v_fmac_f32_e32 v95, 0x3e9e377a, v20
	v_fmac_f32_e32 v61, 0x3e9e377a, v20
	v_add_f32_e32 v20, v62, v68
	v_add_f32_e32 v27, v27, v79
	;; [unrolled: 1-line block ×4, first 2 shown]
	v_fma_f32 v62, -0.5, v98, v18
	v_add_f32_e32 v18, v28, v103
	v_fmamk_f32 v79, v74, 0x3f737871, v16
	v_fmac_f32_e32 v16, 0xbf737871, v74
	v_fmamk_f32 v87, v111, 0xbf737871, v40
	v_fmac_f32_e32 v40, 0x3f737871, v111
	v_fmac_f32_e32 v51, 0x3f167918, v24
	;; [unrolled: 1-line block ×7, first 2 shown]
	v_add_f32_e32 v23, v32, v46
	v_fma_f32 v58, -0.5, v81, v39
	v_add_f32_e32 v28, v105, v50
	v_fma_f32 v39, -0.5, v90, v39
	v_fmac_f32_e32 v11, 0x3f167918, v112
	v_fmac_f32_e32 v106, 0xbf167918, v112
	v_fma_f32 v75, -0.5, v118, v19
	v_add_f32_e32 v21, v21, v52
	v_add_f32_e32 v26, v26, v70
	v_fmac_f32_e32 v79, 0xbf167918, v15
	v_fmac_f32_e32 v16, 0x3f167918, v15
	;; [unrolled: 1-line block ×8, first 2 shown]
	v_sub_f32_e32 v14, v45, v48
	v_fmac_f32_e32 v87, 0x3f167918, v110
	v_add_f32_e32 v18, v115, v116
	v_fmac_f32_e32 v40, 0xbf167918, v110
	v_add_f32_e32 v20, v117, v30
	v_sub_f32_e32 v24, v50, v43
	v_fmac_f32_e32 v19, -0.5, v23
	v_add_f32_e32 v29, v29, v31
	v_fmamk_f32 v31, v82, 0x3f737871, v58
	v_add_f32_e32 v28, v28, v43
	v_sub_f32_e32 v93, v52, v47
	v_fmamk_f32 v52, v84, 0xbf737871, v39
	v_fmac_f32_e32 v39, 0x3f737871, v84
	v_fmac_f32_e32 v58, 0xbf737871, v82
	v_sub_f32_e32 v112, v45, v50
	v_sub_f32_e32 v113, v48, v43
	v_fmac_f32_e32 v85, 0x3e9e377a, v60
	v_fmac_f32_e32 v11, 0x3e9e377a, v108
	;; [unrolled: 1-line block ×3, first 2 shown]
	v_fmamk_f32 v81, v110, 0x3f737871, v71
	v_fmac_f32_e32 v89, 0x3e9e377a, v72
	v_fmac_f32_e32 v66, 0x3e9e377a, v72
	;; [unrolled: 1-line block ×4, first 2 shown]
	v_fmamk_f32 v78, v15, 0xbf737871, v55
	v_fmac_f32_e32 v55, 0x3f737871, v15
	v_fmac_f32_e32 v71, 0xbf737871, v110
	v_add_f32_e32 v15, v21, v47
	v_add_f32_e32 v47, v26, v77
	v_fmac_f32_e32 v79, 0x3e9e377a, v27
	v_fmac_f32_e32 v16, 0x3e9e377a, v27
	v_fmamk_f32 v45, v14, 0xbf737871, v75
	v_fmac_f32_e32 v87, 0x3e9e377a, v18
	v_fmac_f32_e32 v40, 0x3e9e377a, v18
	v_add_f32_e32 v18, v20, v83
	v_sub_f32_e32 v20, v32, v30
	v_sub_f32_e32 v23, v46, v83
	v_fmac_f32_e32 v75, 0x3f737871, v14
	v_fmamk_f32 v43, v24, 0x3f737871, v19
	v_sub_f32_e32 v26, v30, v32
	v_sub_f32_e32 v27, v83, v46
	v_fmac_f32_e32 v19, 0xbf737871, v24
	v_fmac_f32_e32 v22, 0x3e9e377a, v60
	v_add_f32_e32 v10, v10, v56
	v_fmac_f32_e32 v31, 0x3f167918, v84
	v_add_f32_e32 v21, v28, v48
	v_add3_u32 v48, 0, v8, v25
	v_add3_u32 v50, 0, v7, v25
	v_add_f32_e32 v60, v91, v93
	v_fmac_f32_e32 v52, 0x3f167918, v82
	v_fmac_f32_e32 v39, 0xbf167918, v82
	;; [unrolled: 1-line block ×3, first 2 shown]
	v_add_f32_e32 v72, v112, v113
	v_fmac_f32_e32 v81, 0x3f167918, v111
	ds_write2_b32 v63, v13, v85 offset1:17
	ds_write2_b32 v63, v89, v66 offset0:34 offset1:51
	ds_write2_b32 v63, v22, v9 offset0:68 offset1:85
	;; [unrolled: 1-line block ×4, first 2 shown]
	v_add3_u32 v41, 0, v6, v25
	v_fmac_f32_e32 v71, 0xbf167918, v111
	v_fmac_f32_e32 v45, 0xbf167918, v24
	v_add_f32_e32 v20, v20, v23
	v_fmac_f32_e32 v75, 0x3f167918, v24
	v_fmac_f32_e32 v43, 0xbf167918, v14
	v_add_f32_e32 v23, v26, v27
	v_fmac_f32_e32 v19, 0x3f167918, v14
	v_fmac_f32_e32 v31, 0x3e9e377a, v59
	ds_write2_b32 v48, v10, v51 offset0:170 offset1:187
	v_add_nc_u32_e32 v51, 0x200, v50
	v_sub_f32_e32 v101, v77, v70
	v_fmamk_f32 v70, v54, 0xbf737871, v62
	v_fmac_f32_e32 v62, 0x3f737871, v54
	v_fmac_f32_e32 v52, 0x3e9e377a, v60
	;; [unrolled: 1-line block ×3, first 2 shown]
	v_add_nc_u32_e32 v54, 0x400, v50
	v_fmac_f32_e32 v58, 0x3e9e377a, v59
	v_fmac_f32_e32 v81, 0x3e9e377a, v72
	ds_write2_b32 v48, v76, v42 offset0:204 offset1:221
	v_add_nc_u32_e32 v42, 0x400, v41
	v_add_f32_e32 v56, v29, v33
	v_fmac_f32_e32 v71, 0x3e9e377a, v72
	v_add_f32_e32 v46, v18, v46
	v_fmac_f32_e32 v45, 0x3e9e377a, v20
	v_fmac_f32_e32 v75, 0x3e9e377a, v20
	;; [unrolled: 1-line block ×4, first 2 shown]
	ds_write_b32 v48, v12 offset:952
	ds_write2_b32 v51, v15, v31 offset0:127 offset1:144
	ds_write2_b32 v54, v52, v39 offset0:33 offset1:50
	ds_write_b32 v50, v58 offset:1292
	ds_write2_b32 v42, v21, v81 offset0:84 offset1:101
	ds_write2_b32 v42, v87, v40 offset0:118 offset1:135
	ds_write_b32 v41, v71 offset:1632
	s_waitcnt lgkmcnt(0)
	s_barrier
	buffer_gl0_inv
	ds_read_b32 v18, v1
	ds_read2_b32 v[10:11], v63 offset0:85 offset1:102
	ds_read2_b32 v[30:31], v63 offset0:153 offset1:170
	;; [unrolled: 1-line block ×12, first 2 shown]
	v_fmac_f32_e32 v94, 0x3e9e377a, v92
	v_add_f32_e32 v68, v100, v101
	v_fmac_f32_e32 v78, 0xbf167918, v74
	v_fmac_f32_e32 v55, 0x3f167918, v74
	v_fmac_f32_e32 v70, 0xbf167918, v99
	v_fmac_f32_e32 v62, 0x3f167918, v99
	v_fmac_f32_e32 v96, 0x3e9e377a, v104
	v_fmac_f32_e32 v37, 0x3e9e377a, v104
	v_fmac_f32_e32 v38, 0x3e9e377a, v92
	v_fmac_f32_e32 v78, 0x3e9e377a, v57
	v_fmac_f32_e32 v55, 0x3e9e377a, v57
	v_fmac_f32_e32 v70, 0x3e9e377a, v68
	v_fmac_f32_e32 v62, 0x3e9e377a, v68
	s_waitcnt lgkmcnt(0)
	s_barrier
	buffer_gl0_inv
	ds_write2_b32 v63, v44, v94 offset1:17
	ds_write2_b32 v63, v96, v37 offset0:34 offset1:51
	ds_write2_b32 v63, v38, v53 offset0:68 offset1:85
	;; [unrolled: 1-line block ×6, first 2 shown]
	ds_write_b32 v48, v55 offset:952
	ds_write2_b32 v51, v47, v70 offset0:127 offset1:144
	ds_write2_b32 v54, v80, v69 offset0:33 offset1:50
	ds_write_b32 v50, v62 offset:1292
	ds_write2_b32 v42, v46, v45 offset0:84 offset1:101
	ds_write2_b32 v42, v43, v19 offset0:118 offset1:135
	ds_write_b32 v41, v75 offset:1632
	s_waitcnt lgkmcnt(0)
	s_barrier
	buffer_gl0_inv
	s_and_saveexec_b32 s0, vcc_lo
	s_cbranch_execz .LBB0_18
; %bb.17:
	v_lshlrev_b32_e32 v16, 2, v34
	s_clause 0x1
	global_load_dwordx4 v[37:40], v[4:5], off offset:544
	global_load_dwordx4 v[41:44], v[4:5], off offset:560
	v_add_nc_u32_e32 v19, 0x400, v63
	v_lshlrev_b64 v[4:5], 3, v[16:17]
	v_lshlrev_b32_e32 v16, 2, v35
	v_add_co_u32 v4, vcc_lo, s8, v4
	v_add_co_ci_u32_e32 v5, vcc_lo, s9, v5, vcc_lo
	s_clause 0x1
	global_load_dwordx4 v[45:48], v[4:5], off offset:544
	global_load_dwordx4 v[49:52], v[4:5], off offset:560
	v_lshlrev_b64 v[4:5], 3, v[16:17]
	v_lshlrev_b32_e32 v16, 2, v36
	v_add_co_u32 v4, vcc_lo, s8, v4
	v_add_co_ci_u32_e32 v5, vcc_lo, s9, v5, vcc_lo
	s_clause 0x1
	global_load_dwordx4 v[53:56], v[4:5], off offset:544
	global_load_dwordx4 v[57:60], v[4:5], off offset:560
	;; [unrolled: 7-line block ×3, first 2 shown]
	v_lshlrev_b64 v[4:5], 3, v[16:17]
	v_add_nc_u32_e32 v16, 0x200, v63
	v_add_co_u32 v4, vcc_lo, s8, v4
	v_add_co_ci_u32_e32 v5, vcc_lo, s9, v5, vcc_lo
	s_clause 0x1
	global_load_dwordx4 v[72:75], v[4:5], off offset:544
	global_load_dwordx4 v[76:79], v[4:5], off offset:560
	ds_read2_b32 v[4:5], v63 offset0:153 offset1:170
	ds_read2_b32 v[61:62], v16 offset0:127 offset1:144
	;; [unrolled: 1-line block ×9, first 2 shown]
	ds_read_b32 v1, v1
	ds_read2_b32 v[94:95], v19 offset0:135 offset1:152
	ds_read2_b32 v[96:97], v19 offset0:33 offset1:50
	v_add_co_u32 v2, vcc_lo, s2, v2
	v_add_co_ci_u32_e32 v3, vcc_lo, s3, v3, vcc_lo
	s_waitcnt vmcnt(9)
	v_mul_f32_e32 v16, v10, v38
	v_mul_f32_e32 v63, v31, v40
	s_waitcnt vmcnt(8)
	v_mul_f32_e32 v98, v33, v44
	v_mul_f32_e32 v99, v8, v42
	s_waitcnt lgkmcnt(11)
	v_mul_f32_e32 v40, v5, v40
	s_waitcnt lgkmcnt(10)
	;; [unrolled: 2-line block ×4, first 2 shown]
	v_mul_f32_e32 v44, v83, v44
	v_fmac_f32_e32 v16, v80, v37
	v_fmac_f32_e32 v63, v5, v39
	;; [unrolled: 1-line block ×4, first 2 shown]
	v_fma_f32 v61, v31, v39, -v40
	v_fma_f32 v80, v8, v41, -v42
	;; [unrolled: 1-line block ×4, first 2 shown]
	ds_read2_b32 v[37:38], v19 offset0:101 offset1:118
	v_sub_f32_e32 v5, v16, v63
	v_sub_f32_e32 v8, v98, v99
	v_add_f32_e32 v10, v63, v99
	v_sub_f32_e32 v19, v83, v61
	v_sub_f32_e32 v31, v33, v80
	;; [unrolled: 1-line block ×3, first 2 shown]
	v_add_f32_e32 v106, v5, v8
	s_waitcnt lgkmcnt(3)
	v_fma_f32 v40, -0.5, v10, v1
	s_waitcnt vmcnt(7)
	v_mul_f32_e32 v8, v30, v46
	v_add_f32_e32 v107, v19, v31
	v_mul_f32_e32 v10, v29, v48
	s_waitcnt vmcnt(6)
	v_mul_f32_e32 v19, v27, v52
	v_mul_f32_e32 v31, v32, v50
	;; [unrolled: 1-line block ×5, first 2 shown]
	s_waitcnt lgkmcnt(2)
	v_mul_f32_e32 v52, v95, v52
	v_fmac_f32_e32 v8, v4, v45
	v_fmac_f32_e32 v10, v85, v47
	;; [unrolled: 1-line block ×4, first 2 shown]
	v_fma_f32 v4, v29, v47, -v48
	v_fma_f32 v29, v32, v49, -v50
	;; [unrolled: 1-line block ×4, first 2 shown]
	s_waitcnt vmcnt(5)
	v_mul_f32_e32 v32, v25, v54
	v_mul_f32_e32 v46, v28, v56
	s_waitcnt vmcnt(4)
	v_mul_f32_e32 v47, v26, v60
	v_mul_f32_e32 v48, v23, v58
	;; [unrolled: 1-line block ×3, first 2 shown]
	s_waitcnt lgkmcnt(1)
	v_mul_f32_e32 v49, v97, v58
	v_mul_f32_e32 v50, v89, v54
	;; [unrolled: 1-line block ×3, first 2 shown]
	v_sub_f32_e32 v52, v8, v10
	v_sub_f32_e32 v54, v19, v31
	;; [unrolled: 1-line block ×3, first 2 shown]
	v_add_f32_e32 v60, v10, v31
	v_sub_f32_e32 v82, v30, v4
	v_sub_f32_e32 v85, v45, v29
	v_add_f32_e32 v95, v4, v29
	v_fmac_f32_e32 v46, v84, v55
	v_sub_f32_e32 v84, v8, v19
	v_fma_f32 v55, v28, v55, -v27
	v_sub_f32_e32 v27, v10, v8
	v_sub_f32_e32 v28, v31, v19
	v_fmac_f32_e32 v32, v89, v53
	v_fma_f32 v50, v25, v53, -v50
	v_add_f32_e32 v53, v8, v19
	v_sub_f32_e32 v89, v4, v30
	v_sub_f32_e32 v110, v29, v45
	v_add_f32_e32 v111, v30, v45
	v_add_f32_e32 v8, v8, v87
	;; [unrolled: 1-line block ×3, first 2 shown]
	v_fmac_f32_e32 v47, v94, v59
	v_fmac_f32_e32 v48, v97, v57
	v_fma_f32 v49, v23, v57, -v49
	v_fma_f32 v51, v26, v59, -v51
	s_waitcnt vmcnt(3)
	v_mul_f32_e32 v57, v13, v67
	v_mul_f32_e32 v59, v24, v65
	s_waitcnt vmcnt(2)
	v_mul_f32_e32 v94, v22, v69
	v_mul_f32_e32 v97, v15, v71
	;; [unrolled: 1-line block ×3, first 2 shown]
	s_waitcnt lgkmcnt(0)
	v_mul_f32_e32 v65, v38, v71
	v_mul_f32_e32 v67, v91, v67
	;; [unrolled: 1-line block ×3, first 2 shown]
	v_sub_f32_e32 v56, v4, v29
	v_sub_f32_e32 v109, v10, v31
	v_add_f32_e32 v52, v52, v54
	v_fma_f32 v26, -0.5, v60, v87
	v_add_f32_e32 v54, v82, v85
	v_fma_f32 v25, -0.5, v95, v21
	v_add_f32_e32 v60, v27, v28
	v_fma_f32 v28, -0.5, v53, v87
	v_add_f32_e32 v53, v89, v110
	v_fma_f32 v27, -0.5, v111, v21
	v_add_f32_e32 v8, v10, v8
	v_add_f32_e32 v4, v30, v4
	v_sub_f32_e32 v10, v32, v46
	v_sub_f32_e32 v21, v47, v48
	;; [unrolled: 1-line block ×4, first 2 shown]
	v_fmac_f32_e32 v59, v88, v64
	v_sub_f32_e32 v87, v51, v49
	v_add_f32_e32 v88, v55, v49
	v_fma_f32 v64, v24, v64, -v23
	v_fmac_f32_e32 v57, v91, v66
	v_fma_f32 v66, v13, v66, -v67
	v_sub_f32_e32 v110, v55, v50
	v_fmac_f32_e32 v94, v96, v68
	v_add_f32_e32 v111, v50, v51
	v_add_f32_e32 v112, v32, v86
	;; [unrolled: 1-line block ×3, first 2 shown]
	v_fmac_f32_e32 v97, v38, v70
	v_fma_f32 v65, v15, v70, -v65
	v_fma_f32 v68, v22, v68, -v69
	s_waitcnt vmcnt(1)
	v_mul_f32_e32 v69, v12, v75
	v_mul_f32_e32 v38, v11, v73
	s_waitcnt vmcnt(0)
	v_mul_f32_e32 v113, v14, v79
	v_mul_f32_e32 v15, v81, v73
	;; [unrolled: 1-line block ×4, first 2 shown]
	v_sub_f32_e32 v42, v99, v98
	v_add_f32_e32 v43, v16, v98
	v_add_f32_e32 v30, v46, v48
	v_sub_f32_e32 v95, v46, v48
	v_sub_f32_e32 v13, v46, v32
	v_mul_f32_e32 v70, v9, v77
	v_add_f32_e32 v8, v31, v8
	v_add_f32_e32 v4, v4, v29
	v_mul_f32_e32 v77, v62, v77
	v_add_f32_e32 v79, v10, v21
	v_add_f32_e32 v85, v85, v87
	v_fma_f32 v21, -0.5, v88, v20
	v_fmamk_f32 v23, v84, 0xbf737871, v25
	v_fmac_f32_e32 v25, 0x3f737871, v84
	v_fma_f32 v29, -0.5, v111, v20
	v_add_f32_e32 v20, v46, v112
	v_add_f32_e32 v46, v50, v55
	v_sub_f32_e32 v87, v64, v65
	v_fmac_f32_e32 v69, v90, v74
	v_fmac_f32_e32 v38, v81, v72
	v_add_f32_e32 v81, v59, v93
	v_sub_f32_e32 v111, v66, v64
	v_add_f32_e32 v112, v64, v65
	v_fmac_f32_e32 v113, v37, v78
	v_sub_f32_e32 v37, v64, v66
	v_fma_f32 v72, v11, v72, -v15
	v_add_f32_e32 v116, v66, v68
	v_add_f32_e32 v64, v7, v64
	v_fma_f32 v73, v14, v78, -v73
	v_fma_f32 v74, v12, v74, -v75
	v_add_f32_e32 v91, v32, v47
	v_sub_f32_e32 v96, v49, v51
	v_add_f32_e32 v88, v59, v97
	v_sub_f32_e32 v102, v16, v98
	v_add_f32_e32 v108, v41, v42
	v_fma_f32 v42, -0.5, v43, v1
	v_sub_f32_e32 v71, v55, v49
	v_fmamk_f32 v31, v109, 0x3f737871, v27
	v_fmac_f32_e32 v27, 0xbf737871, v109
	v_fmac_f32_e32 v70, v62, v76
	v_sub_f32_e32 v62, v68, v65
	v_sub_f32_e32 v114, v57, v94
	;; [unrolled: 1-line block ×3, first 2 shown]
	v_fma_f32 v75, v9, v76, -v77
	v_fmac_f32_e32 v23, 0xbf167918, v109
	v_fmac_f32_e32 v25, 0x3f167918, v109
	v_add_f32_e32 v9, v19, v8
	v_add_f32_e32 v8, v45, v4
	;; [unrolled: 1-line block ×4, first 2 shown]
	v_fma_f32 v14, -0.5, v112, v7
	v_fma_f32 v19, -0.5, v116, v7
	v_add_f32_e32 v7, v66, v64
	v_sub_f32_e32 v64, v72, v73
	v_sub_f32_e32 v77, v74, v72
	v_add_f32_e32 v81, v72, v73
	v_sub_f32_e32 v109, v72, v74
	v_add_f32_e32 v72, v6, v72
	v_add_f32_e32 v1, v16, v1
	v_add_f32_e32 v16, v18, v83
	v_sub_f32_e32 v89, v32, v47
	v_fma_f32 v22, -0.5, v30, v86
	v_fmamk_f32 v24, v58, 0x3f737871, v26
	v_fma_f32 v30, -0.5, v91, v86
	v_fmamk_f32 v32, v56, 0xbf737871, v28
	v_fmac_f32_e32 v28, 0x3f737871, v56
	v_fmac_f32_e32 v26, 0xbf737871, v58
	v_add_f32_e32 v86, v110, v96
	v_sub_f32_e32 v50, v57, v59
	v_sub_f32_e32 v55, v94, v97
	;; [unrolled: 1-line block ×5, first 2 shown]
	v_add_f32_e32 v4, v48, v20
	v_fma_f32 v15, -0.5, v88, v93
	v_add_f32_e32 v112, v38, v92
	v_add_f32_e32 v110, v57, v94
	v_sub_f32_e32 v59, v59, v97
	v_add_f32_e32 v57, v111, v62
	v_add_f32_e32 v62, v37, v115
	;; [unrolled: 1-line block ×3, first 2 shown]
	v_fmamk_f32 v45, v114, 0x3f737871, v14
	v_fmac_f32_e32 v14, 0xbf737871, v114
	v_add_f32_e32 v72, v74, v72
	v_add_f32_e32 v16, v16, v61
	;; [unrolled: 1-line block ×5, first 2 shown]
	v_fmac_f32_e32 v24, 0x3f167918, v56
	v_fmac_f32_e32 v32, 0x3f167918, v58
	;; [unrolled: 1-line block ×6, first 2 shown]
	v_add_f32_e32 v58, v50, v55
	v_add_f32_e32 v76, v96, v90
	v_sub_f32_e32 v50, v69, v38
	v_sub_f32_e32 v55, v70, v113
	v_add_f32_e32 v56, v38, v113
	v_sub_f32_e32 v84, v69, v70
	v_sub_f32_e32 v88, v38, v113
	;; [unrolled: 1-line block ×3, first 2 shown]
	v_add_f32_e32 v96, v69, v70
	v_add_f32_e32 v38, v47, v4
	v_fmamk_f32 v46, v91, 0xbf737871, v15
	v_fmac_f32_e32 v15, 0x3f737871, v91
	v_add_f32_e32 v4, v94, v49
	v_add_f32_e32 v69, v69, v112
	v_sub_f32_e32 v67, v48, v47
	v_fmamk_f32 v47, v59, 0xbf737871, v19
	v_fmac_f32_e32 v19, 0x3f737871, v59
	v_fmac_f32_e32 v45, 0xbf167918, v59
	;; [unrolled: 1-line block ×3, first 2 shown]
	v_add_f32_e32 v59, v72, v75
	v_add_f32_e32 v16, v16, v80
	v_fma_f32 v39, -0.5, v39, v18
	v_fma_f32 v41, -0.5, v44, v18
	v_add_f32_e32 v111, v74, v75
	v_add_f32_e32 v18, v99, v1
	v_mov_b32_e32 v1, v17
	v_sub_f32_e32 v100, v61, v80
	v_sub_f32_e32 v101, v83, v33
	;; [unrolled: 1-line block ×4, first 2 shown]
	v_fmac_f32_e32 v24, 0x3e9e377a, v52
	v_fmac_f32_e32 v32, 0x3e9e377a, v60
	;; [unrolled: 1-line block ×4, first 2 shown]
	v_add_f32_e32 v60, v50, v55
	v_fma_f32 v50, -0.5, v56, v92
	v_fmac_f32_e32 v46, 0x3f167918, v87
	v_fmac_f32_e32 v15, 0xbf167918, v87
	v_add_f32_e32 v52, v97, v4
	v_add_f32_e32 v4, v70, v69
	v_fmac_f32_e32 v45, 0x3e9e377a, v57
	v_fmac_f32_e32 v14, 0x3e9e377a, v57
	v_add_f32_e32 v57, v59, v73
	v_add_f32_e32 v59, v33, v16
	v_mul_hi_u32 v16, 0xc0c0c0c1, v36
	v_add_f32_e32 v51, v7, v68
	v_fma_f32 v49, -0.5, v81, v6
	v_fma_f32 v7, -0.5, v96, v92
	;; [unrolled: 1-line block ×3, first 2 shown]
	v_lshlrev_b64 v[0:1], 3, v[0:1]
	v_sub_f32_e32 v104, v61, v83
	v_sub_f32_e32 v105, v80, v33
	v_fmamk_f32 v44, v101, 0x3f737871, v40
	v_fmamk_f32 v43, v102, 0xbf737871, v39
	;; [unrolled: 1-line block ×3, first 2 shown]
	v_fmac_f32_e32 v23, 0x3e9e377a, v54
	v_fmac_f32_e32 v25, 0x3e9e377a, v54
	v_fmac_f32_e32 v47, 0xbf167918, v114
	v_fmac_f32_e32 v19, 0x3f167918, v114
	v_fmamk_f32 v54, v66, 0xbf737871, v50
	v_fmac_f32_e32 v50, 0x3f737871, v66
	v_fmac_f32_e32 v46, 0x3e9e377a, v58
	v_fmac_f32_e32 v15, 0x3e9e377a, v58
	v_add_f32_e32 v58, v113, v4
	v_fmamk_f32 v4, v103, 0x3f737871, v41
	v_fmac_f32_e32 v40, 0xbf737871, v101
	v_fmac_f32_e32 v39, 0x3f737871, v102
	;; [unrolled: 1-line block ×4, first 2 shown]
	v_fmamk_f32 v11, v82, 0x3f737871, v22
	v_fmac_f32_e32 v22, 0xbf737871, v82
	v_fma_f32 v20, -0.5, v110, v93
	v_sub_f32_e32 v78, v75, v73
	v_sub_f32_e32 v93, v113, v70
	;; [unrolled: 1-line block ×3, first 2 shown]
	v_fmamk_f32 v56, v64, 0xbf737871, v7
	v_fmamk_f32 v55, v88, 0x3f737871, v6
	v_add_co_u32 v0, vcc_lo, v2, v0
	v_fmac_f32_e32 v5, 0x3f167918, v101
	v_fmac_f32_e32 v47, 0x3e9e377a, v62
	;; [unrolled: 1-line block ×5, first 2 shown]
	v_add_f32_e32 v62, v104, v105
	v_fmac_f32_e32 v4, 0xbf167918, v102
	v_fmac_f32_e32 v40, 0xbf167918, v100
	;; [unrolled: 1-line block ×3, first 2 shown]
	v_lshrrev_b32_e32 v16, 6, v16
	v_fmac_f32_e32 v44, 0x3f167918, v100
	v_fmac_f32_e32 v43, 0xbf167918, v103
	;; [unrolled: 1-line block ×4, first 2 shown]
	v_add_co_ci_u32_e32 v1, vcc_lo, v3, v1, vcc_lo
	v_add_f32_e32 v67, v13, v67
	v_fmamk_f32 v13, v71, 0xbf737871, v30
	v_fmac_f32_e32 v30, 0x3f737871, v71
	v_fmac_f32_e32 v31, 0x3e9e377a, v53
	;; [unrolled: 1-line block ×5, first 2 shown]
	v_add_f32_e32 v68, v77, v78
	v_add_f32_e32 v71, v90, v93
	;; [unrolled: 1-line block ×3, first 2 shown]
	v_fmamk_f32 v53, v84, 0x3f737871, v49
	v_fmac_f32_e32 v49, 0xbf737871, v84
	v_fmac_f32_e32 v56, 0xbf167918, v66
	;; [unrolled: 1-line block ×3, first 2 shown]
	v_add_co_u32 v2, vcc_lo, 0x800, v0
	v_fmac_f32_e32 v7, 0x3f737871, v64
	v_fmac_f32_e32 v6, 0xbf737871, v88
	;; [unrolled: 1-line block ×6, first 2 shown]
	v_add_f32_e32 v60, v98, v18
	v_fmac_f32_e32 v40, 0x3e9e377a, v106
	v_fmac_f32_e32 v39, 0x3e9e377a, v107
	v_mul_u32_u24_e32 v16, 0x154, v16
	v_fmac_f32_e32 v44, 0x3e9e377a, v106
	v_fmac_f32_e32 v43, 0x3e9e377a, v107
	;; [unrolled: 1-line block ×4, first 2 shown]
	v_add_co_ci_u32_e32 v3, vcc_lo, 0, v1, vcc_lo
	v_fmac_f32_e32 v49, 0x3f167918, v88
	v_fmac_f32_e32 v56, 0x3e9e377a, v71
	;; [unrolled: 1-line block ×6, first 2 shown]
	global_store_dwordx2 v[0:1], v[59:60], off
	global_store_dwordx2 v[0:1], v[39:40], off offset:680
	global_store_dwordx2 v[0:1], v[41:42], off offset:1360
	global_store_dwordx2 v[0:1], v[4:5], off offset:2040
	global_store_dwordx2 v[2:3], v[43:44], off offset:672
	global_store_dwordx2 v[0:1], v[57:58], off offset:136
	global_store_dwordx2 v[0:1], v[55:56], off offset:816
	v_lshlrev_b64 v[4:5], 3, v[16:17]
	v_mul_hi_u32 v16, 0xc0c0c0c1, v35
	v_fmac_f32_e32 v49, 0x3e9e377a, v68
	v_fmamk_f32 v48, v87, 0x3f737871, v20
	v_fmac_f32_e32 v20, 0xbf737871, v87
	v_fmac_f32_e32 v53, 0x3e9e377a, v68
	;; [unrolled: 1-line block ×4, first 2 shown]
	global_store_dwordx2 v[0:1], v[49:50], off offset:1496
	global_store_dwordx2 v[2:3], v[53:54], off offset:128
	global_store_dwordx2 v[2:3], v[6:7], off offset:808
	v_lshrrev_b32_e32 v6, 6, v16
	v_fmac_f32_e32 v20, 0xbf167918, v91
	v_add_co_u32 v2, vcc_lo, v0, v4
	v_add_f32_e32 v51, v51, v65
	v_add_co_ci_u32_e32 v3, vcc_lo, v1, v5, vcc_lo
	v_mul_u32_u24_e32 v16, 0x154, v6
	v_fmac_f32_e32 v20, 0x3e9e377a, v76
	v_fmac_f32_e32 v48, 0x3f167918, v91
	v_add_co_u32 v4, vcc_lo, 0x110, v2
	global_store_dwordx2 v[2:3], v[51:52], off offset:272
	global_store_dwordx2 v[2:3], v[19:20], off offset:952
	v_lshlrev_b64 v[18:19], 3, v[16:17]
	v_mul_hi_u32 v16, 0xc0c0c0c1, v34
	v_add_co_ci_u32_e32 v5, vcc_lo, 0, v3, vcc_lo
	v_add_co_u32 v6, vcc_lo, 0x800, v2
	v_fmamk_f32 v10, v89, 0xbf737871, v21
	v_fmac_f32_e32 v21, 0x3f737871, v89
	v_fmamk_f32 v12, v95, 0x3f737871, v29
	v_fmac_f32_e32 v29, 0xbf737871, v95
	v_fmac_f32_e32 v48, 0x3e9e377a, v76
	v_add_co_ci_u32_e32 v7, vcc_lo, 0, v3, vcc_lo
	global_store_dwordx2 v[2:3], v[14:15], off offset:1632
	global_store_dwordx2 v[4:5], v[45:46], off offset:2040
	;; [unrolled: 1-line block ×3, first 2 shown]
	v_lshrrev_b32_e32 v6, 6, v16
	v_fmac_f32_e32 v21, 0x3f167918, v95
	v_add_co_u32 v2, vcc_lo, v0, v18
	v_fmac_f32_e32 v30, 0xbf167918, v82
	v_fmac_f32_e32 v29, 0x3f167918, v89
	;; [unrolled: 1-line block ×4, first 2 shown]
	v_add_co_ci_u32_e32 v3, vcc_lo, v1, v19, vcc_lo
	v_mul_u32_u24_e32 v16, 0x154, v6
	v_fmac_f32_e32 v22, 0x3e9e377a, v79
	v_fmac_f32_e32 v21, 0x3e9e377a, v85
	v_add_co_u32 v4, vcc_lo, 0x198, v2
	v_fmac_f32_e32 v30, 0x3e9e377a, v67
	v_fmac_f32_e32 v29, 0x3e9e377a, v86
	;; [unrolled: 1-line block ×4, first 2 shown]
	v_add_co_ci_u32_e32 v5, vcc_lo, 0, v3, vcc_lo
	global_store_dwordx2 v[2:3], v[37:38], off offset:408
	global_store_dwordx2 v[2:3], v[21:22], off offset:1088
	;; [unrolled: 1-line block ×4, first 2 shown]
	v_lshlrev_b64 v[4:5], 3, v[16:17]
	v_fmac_f32_e32 v10, 0xbf167918, v95
	v_add_co_u32 v2, vcc_lo, 0x800, v2
	v_add_co_ci_u32_e32 v3, vcc_lo, 0, v3, vcc_lo
	v_fmac_f32_e32 v11, 0x3e9e377a, v79
	v_fmac_f32_e32 v10, 0x3e9e377a, v85
	v_add_co_u32 v0, vcc_lo, v0, v4
	v_add_co_ci_u32_e32 v1, vcc_lo, v1, v5, vcc_lo
	global_store_dwordx2 v[2:3], v[10:11], off offset:1080
	v_add_co_u32 v2, vcc_lo, 0x220, v0
	v_add_co_ci_u32_e32 v3, vcc_lo, 0, v1, vcc_lo
	v_add_co_u32 v4, vcc_lo, 0x800, v0
	v_add_co_ci_u32_e32 v5, vcc_lo, 0, v1, vcc_lo
	global_store_dwordx2 v[0:1], v[8:9], off offset:544
	global_store_dwordx2 v[0:1], v[25:26], off offset:1224
	;; [unrolled: 1-line block ×5, first 2 shown]
.LBB0_18:
	s_endpgm
	.section	.rodata,"a",@progbits
	.p2align	6, 0x0
	.amdhsa_kernel fft_rtc_fwd_len425_factors_17_5_5_wgs_51_tpt_17_halfLds_sp_ip_CI_unitstride_sbrr_dirReg
		.amdhsa_group_segment_fixed_size 0
		.amdhsa_private_segment_fixed_size 0
		.amdhsa_kernarg_size 88
		.amdhsa_user_sgpr_count 6
		.amdhsa_user_sgpr_private_segment_buffer 1
		.amdhsa_user_sgpr_dispatch_ptr 0
		.amdhsa_user_sgpr_queue_ptr 0
		.amdhsa_user_sgpr_kernarg_segment_ptr 1
		.amdhsa_user_sgpr_dispatch_id 0
		.amdhsa_user_sgpr_flat_scratch_init 0
		.amdhsa_user_sgpr_private_segment_size 0
		.amdhsa_wavefront_size32 1
		.amdhsa_uses_dynamic_stack 0
		.amdhsa_system_sgpr_private_segment_wavefront_offset 0
		.amdhsa_system_sgpr_workgroup_id_x 1
		.amdhsa_system_sgpr_workgroup_id_y 0
		.amdhsa_system_sgpr_workgroup_id_z 0
		.amdhsa_system_sgpr_workgroup_info 0
		.amdhsa_system_vgpr_workitem_id 0
		.amdhsa_next_free_vgpr 119
		.amdhsa_next_free_sgpr 21
		.amdhsa_reserve_vcc 1
		.amdhsa_reserve_flat_scratch 0
		.amdhsa_float_round_mode_32 0
		.amdhsa_float_round_mode_16_64 0
		.amdhsa_float_denorm_mode_32 3
		.amdhsa_float_denorm_mode_16_64 3
		.amdhsa_dx10_clamp 1
		.amdhsa_ieee_mode 1
		.amdhsa_fp16_overflow 0
		.amdhsa_workgroup_processor_mode 1
		.amdhsa_memory_ordered 1
		.amdhsa_forward_progress 0
		.amdhsa_shared_vgpr_count 0
		.amdhsa_exception_fp_ieee_invalid_op 0
		.amdhsa_exception_fp_denorm_src 0
		.amdhsa_exception_fp_ieee_div_zero 0
		.amdhsa_exception_fp_ieee_overflow 0
		.amdhsa_exception_fp_ieee_underflow 0
		.amdhsa_exception_fp_ieee_inexact 0
		.amdhsa_exception_int_div_zero 0
	.end_amdhsa_kernel
	.text
.Lfunc_end0:
	.size	fft_rtc_fwd_len425_factors_17_5_5_wgs_51_tpt_17_halfLds_sp_ip_CI_unitstride_sbrr_dirReg, .Lfunc_end0-fft_rtc_fwd_len425_factors_17_5_5_wgs_51_tpt_17_halfLds_sp_ip_CI_unitstride_sbrr_dirReg
                                        ; -- End function
	.section	.AMDGPU.csdata,"",@progbits
; Kernel info:
; codeLenInByte = 17524
; NumSgprs: 23
; NumVgprs: 119
; ScratchSize: 0
; MemoryBound: 0
; FloatMode: 240
; IeeeMode: 1
; LDSByteSize: 0 bytes/workgroup (compile time only)
; SGPRBlocks: 2
; VGPRBlocks: 14
; NumSGPRsForWavesPerEU: 23
; NumVGPRsForWavesPerEU: 119
; Occupancy: 8
; WaveLimiterHint : 1
; COMPUTE_PGM_RSRC2:SCRATCH_EN: 0
; COMPUTE_PGM_RSRC2:USER_SGPR: 6
; COMPUTE_PGM_RSRC2:TRAP_HANDLER: 0
; COMPUTE_PGM_RSRC2:TGID_X_EN: 1
; COMPUTE_PGM_RSRC2:TGID_Y_EN: 0
; COMPUTE_PGM_RSRC2:TGID_Z_EN: 0
; COMPUTE_PGM_RSRC2:TIDIG_COMP_CNT: 0
	.text
	.p2alignl 6, 3214868480
	.fill 48, 4, 3214868480
	.type	__hip_cuid_3844e44e61bb99ba,@object ; @__hip_cuid_3844e44e61bb99ba
	.section	.bss,"aw",@nobits
	.globl	__hip_cuid_3844e44e61bb99ba
__hip_cuid_3844e44e61bb99ba:
	.byte	0                               ; 0x0
	.size	__hip_cuid_3844e44e61bb99ba, 1

	.ident	"AMD clang version 19.0.0git (https://github.com/RadeonOpenCompute/llvm-project roc-6.4.0 25133 c7fe45cf4b819c5991fe208aaa96edf142730f1d)"
	.section	".note.GNU-stack","",@progbits
	.addrsig
	.addrsig_sym __hip_cuid_3844e44e61bb99ba
	.amdgpu_metadata
---
amdhsa.kernels:
  - .args:
      - .actual_access:  read_only
        .address_space:  global
        .offset:         0
        .size:           8
        .value_kind:     global_buffer
      - .offset:         8
        .size:           8
        .value_kind:     by_value
      - .actual_access:  read_only
        .address_space:  global
        .offset:         16
        .size:           8
        .value_kind:     global_buffer
      - .actual_access:  read_only
        .address_space:  global
        .offset:         24
        .size:           8
        .value_kind:     global_buffer
      - .offset:         32
        .size:           8
        .value_kind:     by_value
      - .actual_access:  read_only
        .address_space:  global
        .offset:         40
        .size:           8
        .value_kind:     global_buffer
      - .actual_access:  read_only
        .address_space:  global
        .offset:         48
        .size:           8
        .value_kind:     global_buffer
      - .offset:         56
        .size:           4
        .value_kind:     by_value
      - .actual_access:  read_only
        .address_space:  global
        .offset:         64
        .size:           8
        .value_kind:     global_buffer
      - .actual_access:  read_only
        .address_space:  global
        .offset:         72
        .size:           8
        .value_kind:     global_buffer
      - .address_space:  global
        .offset:         80
        .size:           8
        .value_kind:     global_buffer
    .group_segment_fixed_size: 0
    .kernarg_segment_align: 8
    .kernarg_segment_size: 88
    .language:       OpenCL C
    .language_version:
      - 2
      - 0
    .max_flat_workgroup_size: 51
    .name:           fft_rtc_fwd_len425_factors_17_5_5_wgs_51_tpt_17_halfLds_sp_ip_CI_unitstride_sbrr_dirReg
    .private_segment_fixed_size: 0
    .sgpr_count:     23
    .sgpr_spill_count: 0
    .symbol:         fft_rtc_fwd_len425_factors_17_5_5_wgs_51_tpt_17_halfLds_sp_ip_CI_unitstride_sbrr_dirReg.kd
    .uniform_work_group_size: 1
    .uses_dynamic_stack: false
    .vgpr_count:     119
    .vgpr_spill_count: 0
    .wavefront_size: 32
    .workgroup_processor_mode: 1
amdhsa.target:   amdgcn-amd-amdhsa--gfx1030
amdhsa.version:
  - 1
  - 2
...

	.end_amdgpu_metadata
